;; amdgpu-corpus repo=ROCm/rocFFT kind=compiled arch=gfx1030 opt=O3
	.text
	.amdgcn_target "amdgcn-amd-amdhsa--gfx1030"
	.amdhsa_code_object_version 6
	.protected	bluestein_single_fwd_len1870_dim1_sp_op_CI_CI ; -- Begin function bluestein_single_fwd_len1870_dim1_sp_op_CI_CI
	.globl	bluestein_single_fwd_len1870_dim1_sp_op_CI_CI
	.p2align	8
	.type	bluestein_single_fwd_len1870_dim1_sp_op_CI_CI,@function
bluestein_single_fwd_len1870_dim1_sp_op_CI_CI: ; @bluestein_single_fwd_len1870_dim1_sp_op_CI_CI
; %bb.0:
	s_load_dwordx4 s[0:3], s[4:5], 0x28
	v_mul_u32_u24_e32 v1, 0x15f, v0
	v_mov_b32_e32 v69, 0
	v_lshrrev_b32_e32 v1, 16, v1
	v_add_nc_u32_e32 v68, s6, v1
	s_waitcnt lgkmcnt(0)
	v_cmp_gt_u64_e32 vcc_lo, s[0:1], v[68:69]
	s_and_saveexec_b32 s0, vcc_lo
	s_cbranch_execz .LBB0_23
; %bb.1:
	s_clause 0x1
	s_load_dwordx2 s[12:13], s[4:5], 0x0
	s_load_dwordx2 s[14:15], s[4:5], 0x38
	v_mul_lo_u16 v1, 0xbb, v1
	v_sub_nc_u16 v0, v0, v1
	v_and_b32_e32 v90, 0xffff, v0
	v_cmp_gt_u16_e32 vcc_lo, 0x6e, v0
	v_lshlrev_b32_e32 v89, 3, v90
	s_and_saveexec_b32 s1, vcc_lo
	s_cbranch_execz .LBB0_3
; %bb.2:
	s_load_dwordx2 s[6:7], s[4:5], 0x18
	s_waitcnt lgkmcnt(0)
	v_add_co_u32 v23, s0, s12, v89
	v_add_co_ci_u32_e64 v24, null, s13, 0, s0
	v_add_nc_u32_e32 v71, 0x400, v89
	v_add_co_u32 v6, s0, 0x800, v23
	v_add_co_ci_u32_e64 v7, s0, 0, v24, s0
	v_add_co_u32 v10, s0, 0x1000, v23
	v_add_co_ci_u32_e64 v11, s0, 0, v24, s0
	;; [unrolled: 2-line block ×3, first 2 shown]
	v_add_co_u32 v16, s0, 0x2000, v23
	s_load_dwordx4 s[8:11], s[6:7], 0x0
	v_add_co_ci_u32_e64 v17, s0, 0, v24, s0
	s_clause 0x2
	global_load_dwordx2 v[0:1], v89, s[12:13]
	global_load_dwordx2 v[2:3], v89, s[12:13] offset:880
	global_load_dwordx2 v[4:5], v89, s[12:13] offset:1760
	v_add_nc_u32_e32 v72, 0xc00, v89
	v_add_nc_u32_e32 v73, 0x1400, v89
	;; [unrolled: 1-line block ×6, first 2 shown]
	s_waitcnt lgkmcnt(0)
	v_mad_u64_u32 v[8:9], null, s10, v68, 0
	v_mad_u64_u32 v[12:13], null, s8, v90, 0
	s_mul_i32 s6, s9, 0x370
	s_mul_hi_u32 s7, s8, 0x370
	s_add_i32 s7, s7, s6
	v_mad_u64_u32 v[18:19], null, s11, v68, v[9:10]
	v_mad_u64_u32 v[21:22], null, s9, v90, v[13:14]
	v_add_co_u32 v19, s0, 0x2800, v23
	v_add_co_ci_u32_e64 v20, s0, 0, v24, s0
	v_mov_b32_e32 v9, v18
	v_add_co_u32 v22, s0, 0x3000, v23
	v_mov_b32_e32 v13, v21
	v_add_co_ci_u32_e64 v23, s0, 0, v24, s0
	v_lshlrev_b64 v[8:9], 3, v[8:9]
	s_clause 0x3
	global_load_dwordx2 v[24:25], v[6:7], off offset:592
	global_load_dwordx2 v[6:7], v[6:7], off offset:1472
	;; [unrolled: 1-line block ×4, first 2 shown]
	v_lshlrev_b64 v[12:13], 3, v[12:13]
	s_clause 0x6
	global_load_dwordx2 v[28:29], v[14:15], off offset:16
	global_load_dwordx2 v[30:31], v[14:15], off offset:896
	;; [unrolled: 1-line block ×7, first 2 shown]
	v_add_co_u32 v8, s0, s2, v8
	v_add_co_ci_u32_e64 v9, s0, s3, v9, s0
	s_mul_i32 s2, s8, 0x370
	v_add_co_u32 v8, s0, v8, v12
	v_add_co_ci_u32_e64 v9, s0, v9, v13, s0
	global_load_dwordx2 v[38:39], v[22:23], off offset:32
	v_add_co_u32 v12, s0, v8, s2
	v_add_co_ci_u32_e64 v13, s0, s7, v9, s0
	v_add_co_u32 v34, s0, v12, s2
	v_add_co_ci_u32_e64 v35, s0, s7, v13, s0
	;; [unrolled: 2-line block ×4, first 2 shown]
	s_clause 0x3
	global_load_dwordx2 v[8:9], v[8:9], off
	global_load_dwordx2 v[12:13], v[12:13], off
	;; [unrolled: 1-line block ×4, first 2 shown]
	v_add_co_u32 v42, s0, v40, s2
	v_add_co_ci_u32_e64 v43, s0, s7, v41, s0
	global_load_dwordx2 v[40:41], v[40:41], off
	v_add_co_u32 v44, s0, v42, s2
	v_add_co_ci_u32_e64 v45, s0, s7, v43, s0
	global_load_dwordx2 v[42:43], v[42:43], off
	v_add_co_u32 v46, s0, v44, s2
	v_add_co_ci_u32_e64 v47, s0, s7, v45, s0
	global_load_dwordx2 v[44:45], v[44:45], off
	v_add_co_u32 v48, s0, v46, s2
	v_add_co_ci_u32_e64 v49, s0, s7, v47, s0
	global_load_dwordx2 v[46:47], v[46:47], off
	v_add_co_u32 v50, s0, v48, s2
	v_add_co_ci_u32_e64 v51, s0, s7, v49, s0
	global_load_dwordx2 v[48:49], v[48:49], off
	v_add_co_u32 v52, s0, v50, s2
	v_add_co_ci_u32_e64 v53, s0, s7, v51, s0
	global_load_dwordx2 v[50:51], v[50:51], off
	v_add_co_u32 v54, s0, v52, s2
	v_add_co_ci_u32_e64 v55, s0, s7, v53, s0
	global_load_dwordx2 v[52:53], v[52:53], off
	v_add_co_u32 v56, s0, v54, s2
	v_add_co_ci_u32_e64 v57, s0, s7, v55, s0
	global_load_dwordx2 v[54:55], v[54:55], off
	v_add_co_u32 v58, s0, v56, s2
	v_add_co_ci_u32_e64 v59, s0, s7, v57, s0
	global_load_dwordx2 v[56:57], v[56:57], off
	v_add_co_u32 v60, s0, v58, s2
	v_add_co_ci_u32_e64 v61, s0, s7, v59, s0
	global_load_dwordx2 v[58:59], v[58:59], off
	v_add_co_u32 v62, s0, v60, s2
	v_add_co_ci_u32_e64 v63, s0, s7, v61, s0
	global_load_dwordx2 v[60:61], v[60:61], off
	v_add_co_u32 v64, s0, v62, s2
	v_add_co_ci_u32_e64 v65, s0, s7, v63, s0
	global_load_dwordx2 v[62:63], v[62:63], off
	s_clause 0x1
	global_load_dwordx2 v[66:67], v[22:23], off offset:912
	global_load_dwordx2 v[22:23], v[22:23], off offset:1792
	global_load_dwordx2 v[64:65], v[64:65], off
	s_waitcnt vmcnt(18)
	v_mul_f32_e32 v69, v9, v1
	v_mul_f32_e32 v70, v8, v1
	s_waitcnt vmcnt(17)
	v_mul_f32_e32 v1, v13, v3
	v_fmac_f32_e32 v69, v8, v0
	v_fma_f32 v70, v9, v0, -v70
	v_mul_f32_e32 v0, v12, v3
	s_waitcnt vmcnt(16)
	v_mul_f32_e32 v3, v35, v5
	v_mul_f32_e32 v5, v34, v5
	s_waitcnt vmcnt(15)
	v_mul_f32_e32 v8, v21, v25
	v_mul_f32_e32 v9, v20, v25
	v_fmac_f32_e32 v1, v12, v2
	v_fma_f32 v2, v13, v2, -v0
	v_fmac_f32_e32 v3, v34, v4
	v_fma_f32 v4, v35, v4, -v5
	;; [unrolled: 2-line block ×3, first 2 shown]
	s_waitcnt vmcnt(14)
	v_mul_f32_e32 v0, v41, v7
	v_mul_f32_e32 v5, v40, v7
	ds_write2_b64 v89, v[69:70], v[1:2] offset1:110
	s_waitcnt vmcnt(13)
	v_mul_f32_e32 v2, v43, v27
	ds_write2_b64 v71, v[3:4], v[8:9] offset0:92 offset1:202
	v_mul_f32_e32 v3, v42, v27
	v_fmac_f32_e32 v0, v40, v6
	v_fma_f32 v1, v41, v6, -v5
	s_waitcnt vmcnt(12)
	v_mul_f32_e32 v4, v45, v11
	v_mul_f32_e32 v5, v44, v11
	s_waitcnt vmcnt(11)
	v_mul_f32_e32 v6, v47, v29
	v_mul_f32_e32 v7, v46, v29
	v_fmac_f32_e32 v2, v42, v26
	v_fma_f32 v3, v43, v26, -v3
	v_fmac_f32_e32 v4, v44, v10
	v_fma_f32 v5, v45, v10, -v5
	v_fmac_f32_e32 v6, v46, v28
	v_fma_f32 v7, v47, v28, -v7
	ds_write2_b64 v72, v[0:1], v[2:3] offset0:56 offset1:166
	s_waitcnt vmcnt(9)
	v_mul_f32_e32 v0, v51, v15
	v_mul_f32_e32 v1, v50, v15
	;; [unrolled: 1-line block ×3, first 2 shown]
	ds_write2_b64 v73, v[4:5], v[6:7] offset0:20 offset1:130
	v_mul_f32_e32 v9, v48, v31
	s_waitcnt vmcnt(8)
	v_mul_f32_e32 v2, v53, v33
	s_waitcnt vmcnt(7)
	v_mul_f32_e32 v4, v55, v17
	v_mul_f32_e32 v5, v54, v17
	;; [unrolled: 1-line block ×3, first 2 shown]
	v_fmac_f32_e32 v0, v50, v14
	v_fma_f32 v1, v51, v14, -v1
	s_waitcnt vmcnt(6)
	v_mul_f32_e32 v6, v57, v37
	v_mul_f32_e32 v7, v56, v37
	v_fmac_f32_e32 v4, v54, v16
	v_fma_f32 v5, v55, v16, -v5
	v_fmac_f32_e32 v8, v48, v30
	s_waitcnt vmcnt(5)
	v_mul_f32_e32 v10, v59, v19
	v_mul_f32_e32 v11, v58, v19
	v_fma_f32 v9, v49, v30, -v9
	v_fmac_f32_e32 v2, v52, v32
	v_fma_f32 v3, v53, v32, -v3
	s_waitcnt vmcnt(4)
	v_mul_f32_e32 v12, v61, v39
	v_mul_f32_e32 v13, v60, v39
	v_fmac_f32_e32 v6, v56, v36
	s_waitcnt vmcnt(2)
	v_mul_f32_e32 v14, v63, v67
	v_mul_f32_e32 v15, v62, v67
	s_waitcnt vmcnt(0)
	v_mul_f32_e32 v16, v65, v23
	v_mul_f32_e32 v17, v64, v23
	v_fma_f32 v7, v57, v36, -v7
	v_fmac_f32_e32 v10, v58, v18
	v_fma_f32 v11, v59, v18, -v11
	v_fmac_f32_e32 v12, v60, v38
	;; [unrolled: 2-line block ×4, first 2 shown]
	v_fma_f32 v17, v65, v22, -v17
	ds_write2_b64 v74, v[8:9], v[0:1] offset0:112 offset1:222
	ds_write2_b64 v75, v[2:3], v[4:5] offset0:76 offset1:186
	;; [unrolled: 1-line block ×4, first 2 shown]
	ds_write_b64 v89, v[16:17] offset:14080
.LBB0_3:
	s_or_b32 exec_lo, exec_lo, s1
	s_load_dwordx2 s[0:1], s[4:5], 0x20
	v_mov_b32_e32 v12, 0
	v_mov_b32_e32 v13, 0
	s_waitcnt lgkmcnt(0)
	s_barrier
	buffer_gl0_inv
                                        ; implicit-def: $vgpr30
                                        ; implicit-def: $vgpr24
                                        ; implicit-def: $vgpr20
                                        ; implicit-def: $vgpr16
                                        ; implicit-def: $vgpr8
                                        ; implicit-def: $vgpr42
                                        ; implicit-def: $vgpr34
                                        ; implicit-def: $vgpr38
	s_and_saveexec_b32 s2, vcc_lo
	s_cbranch_execz .LBB0_5
; %bb.4:
	v_add_nc_u32_e32 v0, 0x400, v89
	v_add_nc_u32_e32 v1, 0xc00, v89
	v_add_nc_u32_e32 v2, 0x1400, v89
	ds_read2_b64 v[12:15], v89 offset1:110
	v_add_nc_u32_e32 v3, 0x2800, v89
	ds_read2_b64 v[36:39], v0 offset0:92 offset1:202
	ds_read2_b64 v[32:35], v1 offset0:56 offset1:166
	v_add_nc_u32_e32 v0, 0x1800, v89
	v_add_nc_u32_e32 v1, 0x2000, v89
	;; [unrolled: 1-line block ×3, first 2 shown]
	ds_read2_b64 v[40:43], v2 offset0:20 offset1:130
	ds_read2_b64 v[28:31], v0 offset0:112 offset1:222
	;; [unrolled: 1-line block ×5, first 2 shown]
	ds_read_b64 v[8:9], v89 offset:14080
.LBB0_5:
	s_or_b32 exec_lo, exec_lo, s2
	s_waitcnt lgkmcnt(0)
	v_sub_f32_e32 v44, v15, v9
	v_sub_f32_e32 v45, v14, v8
	v_add_f32_e32 v46, v8, v14
	v_sub_f32_e32 v99, v37, v19
	v_add_f32_e32 v47, v9, v15
	v_mul_f32_e32 v52, 0xbeb8f4ab, v44
	v_mul_f32_e32 v53, 0xbeb8f4ab, v45
	v_add_f32_e32 v48, v18, v36
	v_sub_f32_e32 v101, v36, v18
	v_mul_f32_e32 v55, 0xbf2c7751, v99
	v_fmamk_f32 v0, v46, 0x3f6eb680, v52
	v_sub_f32_e32 v104, v39, v17
	v_fma_f32 v1, 0x3f6eb680, v47, -v53
	v_add_f32_e32 v49, v19, v37
	v_mul_f32_e32 v57, 0xbf2c7751, v101
	v_add_f32_e32 v0, v0, v12
	v_fmamk_f32 v2, v48, 0x3f3d2fb0, v55
	v_sub_f32_e32 v107, v38, v16
	v_add_f32_e32 v50, v16, v38
	v_mul_f32_e32 v58, 0xbf65296c, v104
	v_sub_f32_e32 v114, v33, v23
	v_add_f32_e32 v1, v1, v13
	v_fma_f32 v3, 0x3f3d2fb0, v49, -v57
	v_add_f32_e32 v0, v2, v0
	v_add_f32_e32 v51, v17, v39
	v_mul_f32_e32 v59, 0xbf65296c, v107
	v_fmamk_f32 v2, v50, 0x3ee437d1, v58
	v_sub_f32_e32 v115, v32, v22
	v_add_f32_e32 v54, v22, v32
	v_mul_f32_e32 v62, 0xbf7ee86f, v114
	v_sub_f32_e32 v116, v35, v21
	v_add_f32_e32 v1, v3, v1
	v_fma_f32 v3, 0x3ee437d1, v51, -v59
	v_add_f32_e32 v56, v23, v33
	v_mul_f32_e32 v63, 0xbf7ee86f, v115
	v_add_f32_e32 v0, v2, v0
	v_fmamk_f32 v2, v54, 0x3dbcf732, v62
	v_sub_f32_e32 v117, v34, v20
	v_add_f32_e32 v60, v20, v34
	v_mul_f32_e32 v66, 0xbf763a35, v116
	v_sub_f32_e32 v126, v41, v27
	v_add_f32_e32 v1, v3, v1
	v_fma_f32 v3, 0x3dbcf732, v56, -v63
	v_add_f32_e32 v0, v2, v0
	v_add_f32_e32 v61, v21, v35
	v_mul_f32_e32 v67, 0xbf763a35, v117
	v_fmamk_f32 v2, v60, 0xbe8c1d8e, v66
	v_sub_f32_e32 v127, v40, v26
	v_add_f32_e32 v64, v26, v40
	v_mul_f32_e32 v75, 0xbf4c4adb, v126
	v_sub_f32_e32 v134, v43, v25
	v_add_f32_e32 v1, v3, v1
	v_fma_f32 v3, 0xbe8c1d8e, v61, -v67
	v_add_f32_e32 v65, v27, v41
	v_mul_f32_e32 v78, 0xbf4c4adb, v127
	v_add_f32_e32 v0, v2, v0
	v_fmamk_f32 v2, v64, 0xbf1a4643, v75
	v_add_f32_e32 v71, v24, v42
	v_mul_f32_e32 v77, 0xbf06c442, v134
	v_sub_f32_e32 v136, v42, v24
	v_add_f32_e32 v1, v3, v1
	v_fma_f32 v3, 0xbf1a4643, v65, -v78
	v_add_f32_e32 v0, v2, v0
	v_fmamk_f32 v2, v71, 0xbf59a7d5, v77
	v_add_f32_e32 v72, v25, v43
	v_mul_f32_e32 v79, 0xbf06c442, v136
	v_sub_f32_e32 v146, v29, v31
	v_mul_f32_e32 v83, 0xbf2c7751, v44
	v_add_f32_e32 v1, v3, v1
	v_add_f32_e32 v0, v2, v0
	v_fma_f32 v2, 0xbf59a7d5, v72, -v79
	v_add_f32_e32 v76, v30, v28
	v_mul_f32_e32 v81, 0xbe3c28d5, v146
	v_fmamk_f32 v3, v46, 0x3f3d2fb0, v83
	v_mul_f32_e32 v84, 0xbf7ee86f, v99
	v_mul_f32_e32 v95, 0xbf2c7751, v45
	v_add_f32_e32 v1, v2, v1
	v_fmamk_f32 v2, v76, 0xbf7ba420, v81
	v_add_f32_e32 v3, v3, v12
	v_fmamk_f32 v4, v48, 0x3dbcf732, v84
	v_fma_f32 v5, 0x3f3d2fb0, v47, -v95
	v_mul_f32_e32 v97, 0xbf7ee86f, v101
	v_mul_f32_e32 v85, 0xbf4c4adb, v104
	v_add_f32_e32 v69, v2, v0
	v_add_f32_e32 v0, v4, v3
	;; [unrolled: 1-line block ×3, first 2 shown]
	v_fma_f32 v3, 0x3dbcf732, v49, -v97
	v_fmamk_f32 v4, v50, 0xbf1a4643, v85
	v_mul_f32_e32 v93, 0xbf4c4adb, v107
	v_mul_f32_e32 v86, 0xbe3c28d5, v114
	;; [unrolled: 1-line block ×3, first 2 shown]
	v_add_f32_e32 v2, v3, v2
	v_add_f32_e32 v0, v4, v0
	v_fma_f32 v3, 0xbf1a4643, v51, -v93
	v_fmamk_f32 v4, v54, 0xbf7ba420, v86
	v_mul_f32_e32 v87, 0x3f06c442, v116
	v_mul_f32_e32 v96, 0x3f06c442, v117
	;; [unrolled: 1-line block ×3, first 2 shown]
	v_add_f32_e32 v2, v3, v2
	v_add_f32_e32 v0, v4, v0
	v_fma_f32 v3, 0xbf7ba420, v56, -v94
	v_fmamk_f32 v4, v60, 0xbf59a7d5, v87
	v_sub_f32_e32 v148, v28, v30
	v_mul_f32_e32 v98, 0x3f763a35, v127
	v_mul_f32_e32 v113, 0xbf65296c, v44
	v_add_f32_e32 v2, v3, v2
	v_fma_f32 v3, 0xbf59a7d5, v61, -v96
	v_add_f32_e32 v0, v4, v0
	v_fmamk_f32 v4, v64, 0xbe8c1d8e, v92
	v_add_f32_e32 v80, v31, v29
	v_mul_f32_e32 v82, 0xbe3c28d5, v148
	v_add_f32_e32 v2, v3, v2
	v_fma_f32 v3, 0xbe8c1d8e, v65, -v98
	v_add_f32_e32 v0, v4, v0
	v_mul_f32_e32 v100, 0x3f65296c, v134
	v_mul_f32_e32 v102, 0x3f65296c, v136
	v_fmamk_f32 v4, v46, 0x3ee437d1, v113
	v_mul_f32_e32 v108, 0xbf4c4adb, v99
	v_fma_f32 v5, 0xbf7ba420, v80, -v82
	v_add_f32_e32 v2, v3, v2
	v_fmamk_f32 v3, v71, 0x3ee437d1, v100
	v_fma_f32 v6, 0x3ee437d1, v72, -v102
	v_add_f32_e32 v4, v4, v12
	v_fmamk_f32 v7, v48, 0xbf1a4643, v108
	v_mul_f32_e32 v105, 0x3e3c28d5, v104
	v_mul_f32_e32 v118, 0xbf65296c, v45
	v_add_f32_e32 v70, v5, v1
	v_add_f32_e32 v0, v3, v0
	;; [unrolled: 1-line block ×4, first 2 shown]
	v_fmamk_f32 v3, v50, 0xbf7ba420, v105
	v_mul_f32_e32 v106, 0x3f763a35, v114
	v_fma_f32 v5, 0x3ee437d1, v47, -v118
	v_mul_f32_e32 v119, 0xbf4c4adb, v101
	v_mul_f32_e32 v109, 0x3f2c7751, v116
	v_add_f32_e32 v2, v3, v2
	v_fmamk_f32 v3, v54, 0xbe8c1d8e, v106
	v_add_f32_e32 v5, v5, v13
	v_fma_f32 v6, 0xbf1a4643, v49, -v119
	v_mul_f32_e32 v120, 0x3e3c28d5, v107
	v_mul_f32_e32 v88, 0x3eb8f4ab, v146
	v_add_f32_e32 v2, v3, v2
	v_fmamk_f32 v3, v60, 0x3f3d2fb0, v109
	v_mul_f32_e32 v110, 0xbeb8f4ab, v126
	v_add_f32_e32 v5, v6, v5
	v_fma_f32 v6, 0xbf7ba420, v51, -v120
	v_mul_f32_e32 v121, 0x3f763a35, v115
	v_mul_f32_e32 v103, 0x3eb8f4ab, v148
	v_fmamk_f32 v4, v76, 0x3f6eb680, v88
	v_add_f32_e32 v2, v3, v2
	v_fmamk_f32 v3, v64, 0x3f6eb680, v110
	v_mul_f32_e32 v111, 0xbf7ee86f, v134
	v_add_f32_e32 v5, v6, v5
	v_fma_f32 v6, 0xbe8c1d8e, v56, -v121
	v_mul_f32_e32 v122, 0x3f2c7751, v117
	v_fma_f32 v7, 0x3f6eb680, v80, -v103
	v_add_f32_e32 v3, v3, v2
	v_fmamk_f32 v10, v71, 0x3dbcf732, v111
	v_add_f32_e32 v2, v4, v0
	v_mul_f32_e32 v112, 0xbf06c442, v146
	v_add_f32_e32 v4, v6, v5
	v_fma_f32 v5, 0x3f3d2fb0, v61, -v122
	v_mul_f32_e32 v123, 0xbeb8f4ab, v127
	v_mul_f32_e32 v131, 0xbf7ee86f, v44
	v_add_f32_e32 v0, v10, v3
	v_fmamk_f32 v6, v76, 0xbf59a7d5, v112
	v_add_f32_e32 v3, v7, v1
	v_add_f32_e32 v1, v5, v4
	v_fma_f32 v4, 0x3f6eb680, v65, -v123
	v_fmamk_f32 v5, v46, 0x3dbcf732, v131
	v_mul_f32_e32 v128, 0xbe3c28d5, v99
	v_mul_f32_e32 v140, 0xbf7ee86f, v45
	v_add_f32_e32 v0, v6, v0
	v_add_f32_e32 v1, v4, v1
	v_mul_f32_e32 v125, 0xbf7ee86f, v136
	v_add_f32_e32 v4, v5, v12
	v_fmamk_f32 v5, v48, 0xbf7ba420, v128
	v_fma_f32 v6, 0x3dbcf732, v47, -v140
	v_mul_f32_e32 v141, 0xbe3c28d5, v101
	v_mul_f32_e32 v129, 0x3f763a35, v104
	v_fma_f32 v7, 0x3dbcf732, v72, -v125
	v_add_f32_e32 v4, v5, v4
	v_add_f32_e32 v5, v6, v13
	v_fma_f32 v6, 0xbf7ba420, v49, -v141
	v_fmamk_f32 v10, v50, 0xbe8c1d8e, v129
	v_mul_f32_e32 v143, 0x3f763a35, v107
	v_mul_f32_e32 v130, 0x3eb8f4ab, v114
	v_add_f32_e32 v1, v7, v1
	v_add_f32_e32 v5, v6, v5
	;; [unrolled: 1-line block ×3, first 2 shown]
	v_fma_f32 v6, 0xbe8c1d8e, v51, -v143
	v_fmamk_f32 v7, v54, 0x3f6eb680, v130
	v_mul_f32_e32 v144, 0x3eb8f4ab, v115
	v_mul_f32_e32 v132, 0xbf65296c, v116
	;; [unrolled: 1-line block ×3, first 2 shown]
	v_add_f32_e32 v5, v6, v5
	v_add_f32_e32 v4, v7, v4
	v_fma_f32 v6, 0x3f6eb680, v56, -v144
	v_fmamk_f32 v7, v60, 0x3ee437d1, v132
	v_mul_f32_e32 v133, 0xbf06c442, v126
	v_mul_f32_e32 v139, 0xbf06c442, v127
	;; [unrolled: 1-line block ×3, first 2 shown]
	v_add_f32_e32 v5, v6, v5
	v_fma_f32 v6, 0x3ee437d1, v61, -v137
	v_add_f32_e32 v4, v7, v4
	v_fmamk_f32 v7, v64, 0xbf59a7d5, v133
	v_mul_f32_e32 v138, 0x3f4c4adb, v134
	v_mul_f32_e32 v152, 0x3f06c442, v99
	v_add_f32_e32 v5, v6, v5
	v_fma_f32 v6, 0xbf59a7d5, v65, -v139
	v_add_f32_e32 v4, v7, v4
	v_fmamk_f32 v7, v46, 0xbe8c1d8e, v151
	v_fmamk_f32 v11, v48, 0xbf59a7d5, v152
	v_mul_f32_e32 v153, 0x3f2c7751, v104
	v_add_f32_e32 v5, v6, v5
	v_fmamk_f32 v6, v71, 0xbf1a4643, v138
	v_add_f32_e32 v7, v7, v12
	v_mul_f32_e32 v150, 0xbf65296c, v114
	v_mul_f32_e32 v124, 0xbf06c442, v148
	;; [unrolled: 1-line block ×3, first 2 shown]
	v_add_f32_e32 v4, v6, v4
	v_add_f32_e32 v6, v11, v7
	v_fmamk_f32 v7, v50, 0x3f3d2fb0, v153
	v_mul_f32_e32 v154, 0xbe3c28d5, v116
	v_fma_f32 v10, 0xbf59a7d5, v80, -v124
	v_mul_f32_e32 v142, 0x3f4c4adb, v136
	v_fma_f32 v73, 0xbe8c1d8e, v47, -v165
	v_add_f32_e32 v6, v7, v6
	v_fmamk_f32 v7, v54, 0x3ee437d1, v150
	v_mul_f32_e32 v167, 0x3f06c442, v101
	v_mul_f32_e32 v155, 0x3f7ee86f, v126
	v_add_f32_e32 v1, v10, v1
	v_fma_f32 v10, 0xbf1a4643, v72, -v142
	v_add_f32_e32 v6, v7, v6
	v_fmamk_f32 v7, v60, 0xbf7ba420, v154
	v_mul_f32_e32 v135, 0x3f2c7751, v146
	v_add_f32_e32 v73, v73, v13
	v_fma_f32 v74, 0xbf59a7d5, v49, -v167
	v_mul_f32_e32 v166, 0x3f2c7751, v107
	v_add_f32_e32 v6, v7, v6
	v_fmamk_f32 v7, v64, 0x3dbcf732, v155
	v_mul_f32_e32 v149, 0xbeb8f4ab, v134
	v_add_f32_e32 v5, v10, v5
	v_mul_f32_e32 v145, 0x3f2c7751, v148
	v_fmamk_f32 v10, v76, 0x3f3d2fb0, v135
	v_add_f32_e32 v73, v74, v73
	v_fma_f32 v74, 0x3f3d2fb0, v51, -v166
	v_mul_f32_e32 v160, 0xbf65296c, v115
	v_add_f32_e32 v7, v7, v6
	v_fmamk_f32 v91, v71, 0x3f6eb680, v149
	v_mul_f32_e32 v147, 0xbf4c4adb, v146
	v_fma_f32 v11, 0x3f3d2fb0, v80, -v145
	v_add_f32_e32 v73, v74, v73
	v_fma_f32 v74, 0x3ee437d1, v56, -v160
	v_mul_f32_e32 v161, 0xbe3c28d5, v117
	v_add_f32_e32 v6, v10, v4
	v_add_f32_e32 v4, v91, v7
	v_fmamk_f32 v10, v76, 0xbf1a4643, v147
	v_mul_f32_e32 v179, 0xbf4c4adb, v44
	v_mul_f32_e32 v188, 0xbf4c4adb, v45
	v_add_f32_e32 v73, v74, v73
	v_fma_f32 v74, 0xbf7ba420, v61, -v161
	v_add_f32_e32 v7, v11, v5
	v_add_f32_e32 v4, v10, v4
	v_mul_f32_e32 v164, 0x3f7ee86f, v127
	v_fmamk_f32 v10, v46, 0xbf1a4643, v179
	v_mul_f32_e32 v182, 0x3f763a35, v99
	v_fma_f32 v11, 0xbf1a4643, v47, -v188
	v_mul_f32_e32 v190, 0x3f763a35, v101
	v_add_f32_e32 v5, v74, v73
	v_fma_f32 v73, 0x3dbcf732, v65, -v164
	v_add_f32_e32 v10, v10, v12
	v_fmamk_f32 v74, v48, 0xbe8c1d8e, v182
	v_add_f32_e32 v11, v11, v13
	v_fma_f32 v91, 0xbe8c1d8e, v49, -v190
	v_mul_f32_e32 v183, 0xbeb8f4ab, v104
	v_mul_f32_e32 v170, 0xbeb8f4ab, v136
	;; [unrolled: 1-line block ×3, first 2 shown]
	v_add_f32_e32 v5, v73, v5
	v_add_f32_e32 v10, v74, v10
	;; [unrolled: 1-line block ×3, first 2 shown]
	v_fmamk_f32 v73, v50, 0x3f6eb680, v183
	v_mul_f32_e32 v184, 0xbf06c442, v114
	v_fma_f32 v91, 0x3f6eb680, v72, -v170
	v_mul_f32_e32 v194, 0xbf06c442, v44
	v_mul_f32_e32 v205, 0xbf06c442, v45
	v_fma_f32 v74, 0x3f6eb680, v51, -v191
	v_mul_f32_e32 v192, 0xbf06c442, v115
	v_add_f32_e32 v10, v73, v10
	v_fmamk_f32 v73, v54, 0xbf59a7d5, v184
	v_mul_f32_e32 v180, 0x3f7ee86f, v116
	v_add_f32_e32 v5, v91, v5
	v_fmamk_f32 v91, v46, 0xbf59a7d5, v194
	v_mul_f32_e32 v196, 0x3f65296c, v99
	v_fma_f32 v156, 0xbf59a7d5, v47, -v205
	v_mul_f32_e32 v207, 0x3f65296c, v101
	v_add_f32_e32 v11, v74, v11
	v_fma_f32 v74, 0xbf59a7d5, v56, -v192
	v_mul_f32_e32 v186, 0x3f7ee86f, v117
	v_add_f32_e32 v10, v73, v10
	v_fmamk_f32 v73, v60, 0x3dbcf732, v180
	v_mul_f32_e32 v181, 0xbf2c7751, v126
	v_add_f32_e32 v91, v91, v12
	v_fmamk_f32 v157, v48, 0x3ee437d1, v196
	v_add_f32_e32 v156, v156, v13
	v_fma_f32 v158, 0x3ee437d1, v49, -v207
	v_mul_f32_e32 v197, 0xbf7ee86f, v104
	v_mul_f32_e32 v208, 0xbf7ee86f, v107
	v_add_f32_e32 v11, v74, v11
	v_fma_f32 v74, 0x3dbcf732, v61, -v186
	v_mul_f32_e32 v187, 0xbf2c7751, v127
	v_add_f32_e32 v10, v73, v10
	v_fmamk_f32 v73, v64, 0x3f3d2fb0, v181
	v_mul_f32_e32 v178, 0xbe3c28d5, v134
	v_add_f32_e32 v91, v157, v91
	v_add_f32_e32 v156, v158, v156
	v_fmamk_f32 v157, v50, 0x3dbcf732, v197
	v_fma_f32 v158, 0x3dbcf732, v51, -v208
	v_mul_f32_e32 v199, 0x3f4c4adb, v114
	v_mul_f32_e32 v202, 0x3f4c4adb, v115
	v_add_f32_e32 v11, v74, v11
	v_fma_f32 v74, 0x3f3d2fb0, v65, -v187
	v_mul_f32_e32 v189, 0xbe3c28d5, v136
	v_add_f32_e32 v10, v73, v10
	v_fmamk_f32 v73, v71, 0xbf7ba420, v178
	v_add_f32_e32 v91, v157, v91
	v_add_f32_e32 v156, v158, v156
	v_fmamk_f32 v157, v54, 0xbf1a4643, v199
	v_fma_f32 v158, 0xbf1a4643, v56, -v202
	v_mul_f32_e32 v200, 0xbeb8f4ab, v116
	v_mul_f32_e32 v203, 0xbeb8f4ab, v117
	v_add_f32_e32 v11, v74, v11
	v_fma_f32 v74, 0xbf7ba420, v72, -v189
	v_add_f32_e32 v10, v73, v10
	v_add_f32_e32 v73, v157, v91
	;; [unrolled: 1-line block ×3, first 2 shown]
	v_fmamk_f32 v156, v60, 0x3f6eb680, v200
	v_fma_f32 v157, 0x3f6eb680, v61, -v203
	v_mul_f32_e32 v195, 0xbe3c28d5, v126
	v_mul_f32_e32 v204, 0xbe3c28d5, v127
	v_add_f32_e32 v11, v74, v11
	v_add_f32_e32 v73, v156, v73
	;; [unrolled: 1-line block ×3, first 2 shown]
	v_fmamk_f32 v91, v64, 0xbf7ba420, v195
	v_fma_f32 v156, 0xbf7ba420, v65, -v204
	v_mul_f32_e32 v198, 0x3f2c7751, v134
	v_mul_f32_e32 v206, 0x3f2c7751, v136
	s_load_dwordx2 s[2:3], s[4:5], 0x8
	v_mul_f32_e32 v176, 0xbf4c4adb, v148
	v_mul_f32_e32 v185, 0x3f65296c, v146
	;; [unrolled: 1-line block ×3, first 2 shown]
	v_add_f32_e32 v73, v91, v73
	v_add_f32_e32 v74, v156, v74
	v_fmamk_f32 v91, v71, 0x3f3d2fb0, v198
	v_fma_f32 v156, 0x3f3d2fb0, v72, -v206
	v_mul_f32_e32 v201, 0xbf763a35, v146
	v_mul_f32_e32 v209, 0xbf763a35, v148
	v_fma_f32 v159, 0xbf1a4643, v80, -v176
	v_fmamk_f32 v157, v76, 0x3ee437d1, v185
	v_fma_f32 v158, 0x3ee437d1, v80, -v193
	v_add_f32_e32 v73, v91, v73
	v_add_f32_e32 v74, v156, v74
	v_fmamk_f32 v91, v76, 0xbe8c1d8e, v201
	v_fma_f32 v156, 0xbe8c1d8e, v80, -v209
	v_add_f32_e32 v5, v159, v5
	v_add_f32_e32 v10, v157, v10
	;; [unrolled: 1-line block ×5, first 2 shown]
	v_mul_lo_u16 v91, v90, 17
	s_waitcnt lgkmcnt(0)
	s_barrier
	buffer_gl0_inv
	s_and_saveexec_b32 s4, vcc_lo
	s_cbranch_execz .LBB0_7
; %bb.6:
	v_mul_f32_e32 v171, 0xbe3c28d5, v45
	v_mul_f32_e32 v172, 0xbe3c28d5, v44
	;; [unrolled: 1-line block ×5, first 2 shown]
	v_fmamk_f32 v44, v47, 0xbf7ba420, v171
	v_fma_f32 v45, 0xbf7ba420, v46, -v172
	v_fmamk_f32 v175, v49, 0x3f6eb680, v173
	v_fma_f32 v107, 0x3f6eb680, v48, -v99
	v_mul_f32_e32 v101, 0xbf06c442, v104
	v_add_f32_e32 v44, v44, v13
	v_add_f32_e32 v45, v45, v12
	v_fmamk_f32 v252, v51, 0xbf59a7d5, v174
	v_mul_f32_e32 v104, 0x3f2c7751, v114
	v_mul_f32_e32 v117, 0xbf4c4adb, v117
	v_add_f32_e32 v44, v175, v44
	v_mul_f32_e32 v175, 0x3f2c7751, v115
	v_add_f32_e32 v45, v107, v45
	v_fma_f32 v107, 0xbf59a7d5, v50, -v101
	v_fma_f32 v115, 0x3f3d2fb0, v54, -v104
	v_add_f32_e32 v44, v252, v44
	v_fmamk_f32 v114, v56, 0x3f3d2fb0, v175
	v_mul_f32_e32 v220, 0xbf59a7d5, v47
	v_add_f32_e32 v45, v107, v45
	v_mul_f32_e32 v107, 0xbf4c4adb, v116
	v_fmamk_f32 v252, v61, 0xbf1a4643, v117
	v_add_f32_e32 v44, v114, v44
	v_mul_f32_e32 v116, 0x3f65296c, v127
	v_add_f32_e32 v45, v115, v45
	v_fma_f32 v115, 0xbf1a4643, v60, -v107
	v_mul_f32_e32 v114, 0x3f65296c, v126
	v_mul_f32_e32 v232, 0x3ee437d1, v49
	v_add_f32_e32 v44, v252, v44
	v_fmamk_f32 v126, v65, 0x3ee437d1, v116
	v_add_f32_e32 v45, v115, v45
	v_fma_f32 v115, 0x3ee437d1, v64, -v114
	v_add_f32_e32 v205, v205, v220
	v_mul_f32_e32 v219, 0xbf59a7d5, v46
	v_mul_f32_e32 v244, 0x3dbcf732, v51
	v_add_f32_e32 v44, v126, v44
	v_add_f32_e32 v45, v115, v45
	v_mul_f32_e32 v115, 0xbf763a35, v134
	v_mul_f32_e32 v134, 0x3f7ee86f, v148
	v_add_f32_e32 v148, v207, v232
	v_mul_f32_e32 v126, 0x3f7ee86f, v146
	v_add_f32_e32 v146, v205, v13
	v_add_f32_e32 v15, v15, v13
	v_mul_f32_e32 v211, 0x3ee437d1, v46
	v_mul_f32_e32 v231, 0x3ee437d1, v48
	v_add_f32_e32 v208, v208, v244
	v_add_f32_e32 v146, v148, v146
	v_mul_f32_e32 v148, 0xbf1a4643, v56
	v_sub_f32_e32 v194, v219, v194
	v_add_f32_e32 v14, v14, v12
	v_add_f32_e32 v15, v37, v15
	v_mul_f32_e32 v210, 0x3f3d2fb0, v47
	v_mul_f32_e32 v223, 0xbf1a4643, v48
	;; [unrolled: 1-line block ×3, first 2 shown]
	v_add_f32_e32 v146, v208, v146
	v_add_f32_e32 v148, v202, v148
	v_mul_f32_e32 v202, 0x3f6eb680, v61
	v_sub_f32_e32 v196, v231, v196
	v_add_f32_e32 v194, v194, v12
	v_sub_f32_e32 v113, v211, v113
	v_add_f32_e32 v14, v36, v14
	v_add_f32_e32 v15, v39, v15
	v_mul_f32_e32 v177, 0x3f3d2fb0, v46
	v_mul_f32_e32 v217, 0xbf1a4643, v46
	;; [unrolled: 1-line block ×7, first 2 shown]
	v_add_f32_e32 v146, v148, v146
	v_add_f32_e32 v202, v203, v202
	;; [unrolled: 1-line block ×3, first 2 shown]
	v_mul_f32_e32 v196, 0xbf7ba420, v65
	v_sub_f32_e32 v197, v243, v197
	v_add_f32_e32 v95, v95, v210
	v_add_f32_e32 v113, v113, v12
	v_sub_f32_e32 v108, v223, v108
	v_add_f32_e32 v14, v38, v14
	v_add_f32_e32 v15, v33, v15
	v_mul_f32_e32 v221, 0x3dbcf732, v48
	v_mul_f32_e32 v229, 0xbe8c1d8e, v48
	;; [unrolled: 1-line block ×5, first 2 shown]
	v_add_f32_e32 v146, v202, v146
	v_add_f32_e32 v196, v204, v196
	v_add_f32_e32 v194, v197, v194
	v_mul_f32_e32 v197, 0x3f3d2fb0, v72
	v_sub_f32_e32 v136, v136, v199
	v_add_f32_e32 v188, v188, v218
	v_sub_f32_e32 v179, v217, v179
	v_add_f32_e32 v95, v95, v13
	v_add_f32_e32 v97, v97, v222
	v_sub_f32_e32 v83, v177, v83
	v_add_f32_e32 v108, v108, v113
	v_sub_f32_e32 v105, v235, v105
	v_add_f32_e32 v14, v32, v14
	v_mul_f32_e32 v216, 0xbe8c1d8e, v47
	v_add_f32_e32 v15, v35, v15
	v_mul_f32_e32 v233, 0xbf1a4643, v50
	v_mul_f32_e32 v241, 0x3f6eb680, v50
	;; [unrolled: 1-line block ×4, first 2 shown]
	v_fmamk_f32 v220, v72, 0xbe8c1d8e, v127
	v_fma_f32 v207, 0xbe8c1d8e, v71, -v115
	v_mul_f32_e32 v219, 0x3f3d2fb0, v60
	v_add_f32_e32 v146, v196, v146
	v_mul_f32_e32 v196, 0x3f6eb680, v60
	v_add_f32_e32 v197, v206, v197
	v_add_f32_e32 v136, v136, v194
	v_mul_f32_e32 v194, 0xbe8c1d8e, v80
	v_add_f32_e32 v190, v190, v230
	v_add_f32_e32 v188, v188, v13
	v_sub_f32_e32 v182, v229, v182
	v_add_f32_e32 v179, v179, v12
	v_add_f32_e32 v95, v97, v95
	;; [unrolled: 1-line block ×4, first 2 shown]
	v_sub_f32_e32 v84, v221, v84
	v_add_f32_e32 v97, v105, v108
	v_sub_f32_e32 v105, v247, v106
	v_add_f32_e32 v14, v34, v14
	v_mul_f32_e32 v228, 0xbf59a7d5, v49
	v_add_f32_e32 v165, v165, v216
	v_add_f32_e32 v15, v41, v15
	v_mul_f32_e32 v245, 0xbf7ba420, v54
	v_mul_f32_e32 v253, 0xbf59a7d5, v54
	;; [unrolled: 1-line block ×3, first 2 shown]
	v_add_f32_e32 v44, v220, v44
	v_fmamk_f32 v205, v80, 0x3dbcf732, v134
	v_add_f32_e32 v207, v207, v45
	v_fma_f32 v220, 0x3dbcf732, v76, -v126
	v_mul_f32_e32 v208, 0xbf59a7d5, v61
	v_sub_f32_e32 v196, v196, v200
	v_add_f32_e32 v146, v197, v146
	v_add_f32_e32 v194, v209, v194
	v_mul_f32_e32 v218, 0x3f6eb680, v64
	v_add_f32_e32 v188, v190, v188
	v_add_f32_e32 v191, v191, v242
	;; [unrolled: 1-line block ×3, first 2 shown]
	v_sub_f32_e32 v183, v241, v183
	v_add_f32_e32 v93, v93, v95
	v_add_f32_e32 v94, v94, v246
	;; [unrolled: 1-line block ×3, first 2 shown]
	v_sub_f32_e32 v84, v233, v85
	v_add_f32_e32 v85, v105, v97
	v_sub_f32_e32 v95, v219, v109
	v_add_f32_e32 v14, v40, v14
	v_mul_f32_e32 v214, 0x3dbcf732, v47
	v_mul_f32_e32 v215, 0xbe8c1d8e, v46
	;; [unrolled: 1-line block ×4, first 2 shown]
	v_add_f32_e32 v167, v167, v228
	v_add_f32_e32 v165, v165, v13
	v_add_f32_e32 v15, v43, v15
	v_add_f32_e32 v45, v205, v44
	v_add_f32_e32 v44, v220, v207
	v_mul_f32_e32 v207, 0xbf59a7d5, v60
	v_add_f32_e32 v136, v196, v136
	v_mul_f32_e32 v196, 0xbe8c1d8e, v65
	v_add_f32_e32 v188, v191, v188
	v_add_f32_e32 v192, v192, v254
	;; [unrolled: 1-line block ×3, first 2 shown]
	v_mul_f32_e32 v194, 0x3dbcf732, v71
	v_add_f32_e32 v179, v183, v179
	v_sub_f32_e32 v183, v253, v184
	v_add_f32_e32 v93, v94, v93
	v_add_f32_e32 v94, v96, v208
	;; [unrolled: 1-line block ×3, first 2 shown]
	v_sub_f32_e32 v84, v245, v86
	v_add_f32_e32 v85, v95, v85
	v_sub_f32_e32 v86, v218, v110
	v_add_f32_e32 v14, v42, v14
	v_mul_f32_e32 v226, 0xbf7ba420, v49
	v_add_f32_e32 v140, v140, v214
	v_mul_f32_e32 v227, 0xbf59a7d5, v48
	v_mul_f32_e32 v252, 0x3ee437d1, v56
	v_sub_f32_e32 v195, v209, v195
	v_mul_f32_e32 v209, 0x3f3d2fb0, v71
	v_add_f32_e32 v165, v167, v165
	v_add_f32_e32 v166, v166, v240
	v_sub_f32_e32 v151, v215, v151
	v_add_f32_e32 v15, v29, v15
	v_mul_f32_e32 v163, 0x3f6eb680, v46
	v_mul_f32_e32 v169, 0x3f6eb680, v47
	;; [unrolled: 1-line block ×3, first 2 shown]
	v_add_f32_e32 v188, v192, v188
	v_mul_f32_e32 v192, 0x3ee437d1, v72
	v_add_f32_e32 v179, v183, v179
	v_mul_f32_e32 v183, 0xbf59a7d5, v76
	v_add_f32_e32 v93, v94, v93
	v_add_f32_e32 v94, v98, v196
	;; [unrolled: 1-line block ×3, first 2 shown]
	v_sub_f32_e32 v84, v207, v87
	v_add_f32_e32 v85, v86, v85
	v_sub_f32_e32 v86, v194, v111
	v_add_f32_e32 v14, v28, v14
	v_mul_f32_e32 v212, 0x3ee437d1, v47
	v_mul_f32_e32 v213, 0x3dbcf732, v46
	;; [unrolled: 1-line block ×3, first 2 shown]
	v_add_f32_e32 v140, v140, v13
	v_add_f32_e32 v141, v141, v226
	v_mul_f32_e32 v239, 0x3f3d2fb0, v50
	v_mul_f32_e32 v202, 0xbf7ba420, v61
	v_add_f32_e32 v136, v195, v136
	v_sub_f32_e32 v198, v209, v198
	v_add_f32_e32 v165, v166, v165
	v_add_f32_e32 v160, v160, v252
	;; [unrolled: 1-line block ×3, first 2 shown]
	v_sub_f32_e32 v152, v227, v152
	v_add_f32_e32 v31, v31, v15
	v_mul_f32_e32 v158, 0x3f3d2fb0, v48
	v_mul_f32_e32 v168, 0x3f3d2fb0, v49
	v_add_f32_e32 v87, v94, v93
	v_add_f32_e32 v93, v102, v192
	;; [unrolled: 1-line block ×3, first 2 shown]
	v_sub_f32_e32 v84, v197, v92
	v_add_f32_e32 v85, v86, v85
	v_sub_f32_e32 v86, v183, v112
	v_add_f32_e32 v95, v53, v169
	;; [unrolled: 2-line block ×3, first 2 shown]
	v_mul_f32_e32 v224, 0xbf1a4643, v49
	v_mul_f32_e32 v225, 0xbf7ba420, v48
	;; [unrolled: 1-line block ×3, first 2 shown]
	v_add_f32_e32 v140, v141, v140
	v_add_f32_e32 v141, v143, v238
	v_sub_f32_e32 v131, v213, v131
	v_add_f32_e32 v118, v118, v212
	v_mul_f32_e32 v251, 0x3ee437d1, v54
	v_add_f32_e32 v136, v198, v136
	v_mul_f32_e32 v198, 0x3dbcf732, v65
	v_add_f32_e32 v160, v160, v165
	v_add_f32_e32 v161, v161, v202
	;; [unrolled: 1-line block ×3, first 2 shown]
	v_sub_f32_e32 v153, v239, v153
	v_add_f32_e32 v25, v25, v31
	v_fma_f32 v31, 0xbf7ba420, v47, -v171
	v_fmac_f32_e32 v172, 0xbf7ba420, v46
	v_mul_f32_e32 v156, 0x3ee437d1, v50
	v_mul_f32_e32 v157, 0x3ee437d1, v51
	v_add_f32_e32 v87, v93, v87
	v_add_f32_e32 v93, v84, v83
	;; [unrolled: 1-line block ×6, first 2 shown]
	v_sub_f32_e32 v55, v158, v55
	v_add_f32_e32 v24, v24, v30
	v_mul_f32_e32 v236, 0xbf7ba420, v51
	v_mul_f32_e32 v237, 0xbe8c1d8e, v50
	;; [unrolled: 1-line block ×4, first 2 shown]
	v_add_f32_e32 v141, v141, v140
	v_add_f32_e32 v144, v144, v250
	;; [unrolled: 1-line block ×3, first 2 shown]
	v_sub_f32_e32 v128, v225, v128
	v_add_f32_e32 v118, v118, v13
	v_add_f32_e32 v119, v119, v224
	v_mul_f32_e32 v231, 0xbf7ba420, v60
	v_mul_f32_e32 v241, 0x3f6eb680, v72
	v_add_f32_e32 v160, v161, v160
	v_add_f32_e32 v161, v164, v198
	;; [unrolled: 1-line block ×3, first 2 shown]
	v_sub_f32_e32 v150, v251, v150
	v_add_f32_e32 v25, v27, v25
	v_add_f32_e32 v13, v31, v13
	v_fma_f32 v27, 0x3f6eb680, v49, -v173
	v_add_f32_e32 v12, v172, v12
	v_fmac_f32_e32 v99, 0x3f6eb680, v48
	v_mul_f32_e32 v159, 0x3dbcf732, v54
	v_mul_f32_e32 v162, 0x3dbcf732, v56
	v_add_f32_e32 v57, v57, v86
	v_add_f32_e32 v37, v59, v157
	v_add_f32_e32 v52, v55, v52
	v_sub_f32_e32 v55, v156, v58
	v_add_f32_e32 v24, v26, v24
	v_mul_f32_e32 v248, 0xbe8c1d8e, v56
	v_mul_f32_e32 v249, 0x3f6eb680, v54
	;; [unrolled: 1-line block ×4, first 2 shown]
	v_add_f32_e32 v186, v186, v199
	v_add_f32_e32 v141, v144, v141
	;; [unrolled: 1-line block ×4, first 2 shown]
	v_sub_f32_e32 v129, v237, v129
	v_add_f32_e32 v118, v119, v118
	v_add_f32_e32 v119, v120, v236
	v_mul_f32_e32 v204, 0x3dbcf732, v60
	v_mul_f32_e32 v242, 0x3dbcf732, v64
	;; [unrolled: 1-line block ×3, first 2 shown]
	v_add_f32_e32 v153, v161, v160
	v_add_f32_e32 v160, v170, v241
	;; [unrolled: 1-line block ×3, first 2 shown]
	v_sub_f32_e32 v152, v231, v154
	v_add_f32_e32 v21, v21, v25
	v_add_f32_e32 v13, v27, v13
	v_fma_f32 v25, 0xbf59a7d5, v51, -v174
	v_add_f32_e32 v12, v99, v12
	v_fmac_f32_e32 v101, 0xbf59a7d5, v50
	v_mul_f32_e32 v232, 0xbe8c1d8e, v60
	v_mul_f32_e32 v205, 0xbe8c1d8e, v61
	;; [unrolled: 1-line block ×3, first 2 shown]
	v_add_f32_e32 v36, v37, v57
	v_add_f32_e32 v37, v63, v162
	;; [unrolled: 1-line block ×3, first 2 shown]
	v_sub_f32_e32 v33, v159, v62
	v_add_f32_e32 v20, v20, v24
	v_mul_f32_e32 v220, 0x3f3d2fb0, v61
	v_mul_f32_e32 v148, 0x3ee437d1, v60
	v_add_f32_e32 v186, v186, v188
	v_mul_f32_e32 v188, 0xbf1a4643, v72
	v_add_f32_e32 v187, v187, v243
	;; [unrolled: 2-line block ×3, first 2 shown]
	v_add_f32_e32 v131, v139, v209
	v_add_f32_e32 v128, v129, v128
	v_sub_f32_e32 v129, v249, v130
	v_add_f32_e32 v118, v119, v118
	v_add_f32_e32 v119, v121, v248
	v_mul_f32_e32 v229, 0x3f6eb680, v71
	v_sub_f32_e32 v180, v204, v180
	v_add_f32_e32 v143, v160, v153
	v_add_f32_e32 v153, v176, v167
	;; [unrolled: 1-line block ×3, first 2 shown]
	v_sub_f32_e32 v154, v242, v155
	v_add_f32_e32 v21, v23, v21
	v_add_f32_e32 v13, v25, v13
	v_fma_f32 v23, 0x3f3d2fb0, v56, -v175
	v_add_f32_e32 v12, v101, v12
	v_fmac_f32_e32 v104, 0x3f3d2fb0, v54
	v_mul_f32_e32 v206, 0xbf1a4643, v64
	v_mul_f32_e32 v200, 0xbf1a4643, v65
	v_sub_f32_e32 v190, v190, v201
	v_add_f32_e32 v36, v37, v36
	v_add_f32_e32 v37, v67, v205
	;; [unrolled: 1-line block ×3, first 2 shown]
	v_sub_f32_e32 v33, v232, v66
	v_add_f32_e32 v20, v22, v20
	v_mul_f32_e32 v230, 0x3f6eb680, v65
	v_add_f32_e32 v186, v187, v186
	v_add_f32_e32 v182, v189, v182
	v_mul_f32_e32 v228, 0x3f3d2fb0, v80
	v_add_f32_e32 v130, v131, v137
	v_add_f32_e32 v121, v142, v188
	;; [unrolled: 1-line block ×3, first 2 shown]
	v_sub_f32_e32 v129, v148, v132
	v_add_f32_e32 v118, v119, v118
	v_add_f32_e32 v119, v122, v220
	v_mul_f32_e32 v195, 0xbf59a7d5, v64
	v_add_f32_e32 v179, v180, v179
	v_mul_f32_e32 v180, 0xbf1a4643, v76
	v_add_f32_e32 v140, v153, v143
	v_add_f32_e32 v143, v154, v152
	v_sub_f32_e32 v144, v229, v149
	v_mul_f32_e32 v201, 0x3f3d2fb0, v64
	v_add_f32_e32 v17, v17, v21
	v_add_f32_e32 v13, v23, v13
	v_fma_f32 v21, 0xbf1a4643, v61, -v117
	v_add_f32_e32 v12, v104, v12
	v_fmac_f32_e32 v107, 0xbf1a4643, v60
	v_mul_f32_e32 v244, 0xbf59a7d5, v71
	v_add_f32_e32 v190, v190, v136
	v_mul_f32_e32 v136, 0xbf59a7d5, v72
	v_add_f32_e32 v35, v37, v36
	v_add_f32_e32 v34, v78, v200
	;; [unrolled: 1-line block ×3, first 2 shown]
	v_sub_f32_e32 v33, v206, v75
	v_add_f32_e32 v16, v16, v20
	v_mul_f32_e32 v146, 0x3ee437d1, v71
	v_mul_f32_e32 v199, 0x3dbcf732, v72
	v_add_f32_e32 v182, v182, v186
	v_mul_f32_e32 v186, 0x3f6eb680, v80
	v_add_f32_e32 v121, v121, v130
	v_add_f32_e32 v122, v129, v128
	;; [unrolled: 1-line block ×5, first 2 shown]
	v_mul_f32_e32 v217, 0xbf1a4643, v71
	v_add_f32_e32 v120, v144, v143
	v_sub_f32_e32 v131, v180, v147
	v_sub_f32_e32 v128, v195, v133
	v_mul_f32_e32 v187, 0xbf7ba420, v71
	v_sub_f32_e32 v181, v201, v181
	v_add_f32_e32 v17, v19, v17
	v_add_f32_e32 v13, v21, v13
	v_fma_f32 v19, 0x3ee437d1, v65, -v116
	v_add_f32_e32 v12, v107, v12
	v_fmac_f32_e32 v114, 0x3ee437d1, v64
	v_mul_f32_e32 v189, 0xbf7ba420, v76
	v_mul_f32_e32 v184, 0xbf7ba420, v80
	v_add_f32_e32 v34, v34, v35
	v_add_f32_e32 v35, v79, v136
	;; [unrolled: 1-line block ×3, first 2 shown]
	v_sub_f32_e32 v29, v244, v77
	v_add_f32_e32 v16, v18, v16
	v_mul_f32_e32 v243, 0x3f6eb680, v76
	v_mul_f32_e32 v216, 0xbf59a7d5, v80
	v_add_f32_e32 v118, v129, v121
	v_add_f32_e32 v119, v123, v119
	;; [unrolled: 1-line block ×4, first 2 shown]
	v_sub_f32_e32 v94, v146, v100
	v_mul_f32_e32 v204, 0x3f3d2fb0, v76
	v_add_f32_e32 v139, v131, v120
	v_add_f32_e32 v120, v128, v122
	v_sub_f32_e32 v122, v217, v138
	v_mul_f32_e32 v201, 0x3ee437d1, v80
	v_mul_f32_e32 v240, 0x3ee437d1, v76
	v_add_f32_e32 v179, v181, v179
	v_sub_f32_e32 v178, v187, v178
	v_add_f32_e32 v9, v9, v17
	v_add_f32_e32 v13, v19, v13
	v_fma_f32 v17, 0xbe8c1d8e, v72, -v127
	v_add_f32_e32 v12, v114, v12
	v_fmac_f32_e32 v115, 0xbe8c1d8e, v71
	v_add_f32_e32 v33, v35, v34
	v_add_f32_e32 v34, v82, v184
	;; [unrolled: 1-line block ×3, first 2 shown]
	v_sub_f32_e32 v29, v189, v81
	v_add_f32_e32 v8, v8, v16
	v_mov_b32_e32 v16, 3
	v_add_f32_e32 v119, v121, v119
	v_add_f32_e32 v121, v124, v216
	;; [unrolled: 1-line block ×4, first 2 shown]
	v_sub_f32_e32 v87, v243, v88
	v_add_f32_e32 v120, v122, v120
	v_sub_f32_e32 v122, v204, v135
	v_add_f32_e32 v193, v193, v201
	v_add_f32_e32 v178, v178, v179
	v_sub_f32_e32 v165, v240, v185
	v_add_f32_e32 v13, v17, v13
	v_fma_f32 v17, 0x3dbcf732, v80, -v134
	v_add_f32_e32 v12, v115, v12
	v_fmac_f32_e32 v126, 0x3dbcf732, v76
	v_add_f32_e32 v15, v34, v33
	v_add_f32_e32 v14, v29, v28
	v_lshlrev_b32_sdwa v16, v16, v91 dst_sel:DWORD dst_unused:UNUSED_PAD src0_sel:DWORD src1_sel:WORD_0
	v_add_f32_e32 v84, v121, v119
	v_add_f32_e32 v52, v87, v85
	;; [unrolled: 1-line block ×7, first 2 shown]
	ds_write2_b64 v16, v[8:9], v[14:15] offset1:1
	ds_write2_b64 v16, v[52:53], v[83:84] offset0:2 offset1:3
	ds_write2_b64 v16, v[117:118], v[139:140] offset0:4 offset1:5
	ds_write2_b64 v16, v[150:151], v[190:191] offset0:6 offset1:7
	ds_write2_b64 v16, v[44:45], v[12:13] offset0:8 offset1:9
	ds_write2_b64 v16, v[73:74], v[10:11] offset0:10 offset1:11
	ds_write2_b64 v16, v[4:5], v[6:7] offset0:12 offset1:13
	ds_write2_b64 v16, v[0:1], v[2:3] offset0:14 offset1:15
	ds_write_b64 v16, v[69:70] offset:128
.LBB0_7:
	s_or_b32 exec_lo, exec_lo, s4
	v_and_b32_e32 v8, 0xff, v90
	s_load_dwordx4 s[4:7], s[0:1], 0x0
	s_waitcnt lgkmcnt(0)
	s_barrier
	buffer_gl0_inv
	v_mul_lo_u16 v8, 0xf1, v8
	v_mov_b32_e32 v45, 0xaa
	v_cmp_gt_u16_e64 s0, 0xaa, v90
	v_lshrrev_b16 v44, 12, v8
	v_mul_lo_u16 v8, v44, 17
	v_sub_nc_u16 v8, v90, v8
	v_and_b32_e32 v48, 0xff, v8
	v_mad_u64_u32 v[8:9], null, 0x48, v48, s[2:3]
	s_clause 0x4
	global_load_dwordx4 v[24:27], v[8:9], off
	global_load_dwordx4 v[20:23], v[8:9], off offset:16
	global_load_dwordx4 v[16:19], v[8:9], off offset:32
	;; [unrolled: 1-line block ×3, first 2 shown]
	global_load_dwordx2 v[71:72], v[8:9], off offset:64
	v_add_nc_u32_e32 v8, 0xa00, v89
	v_add_nc_u32_e32 v9, 0x1600, v89
	ds_read2_b64 v[28:31], v89 offset1:187
	ds_read2_b64 v[32:35], v8 offset0:54 offset1:241
	v_add_nc_u32_e32 v8, 0x2200, v89
	ds_read2_b64 v[36:39], v9 offset0:44 offset1:231
	v_add_nc_u32_e32 v9, 0x2e00, v89
	ds_read2_b64 v[40:43], v8 offset0:34 offset1:221
	v_mul_u32_u24_sdwa v8, v44, v45 dst_sel:DWORD dst_unused:UNUSED_PAD src0_sel:WORD_0 src1_sel:DWORD
	ds_read2_b64 v[44:47], v9 offset0:24 offset1:211
	s_waitcnt vmcnt(0) lgkmcnt(0)
	s_barrier
	buffer_gl0_inv
	v_add_lshl_u32 v92, v8, v48, 3
	v_mul_f32_e32 v8, v31, v25
	v_mul_f32_e32 v9, v30, v25
	;; [unrolled: 1-line block ×18, first 2 shown]
	v_fma_f32 v8, v30, v24, -v8
	v_fmac_f32_e32 v9, v31, v24
	v_fma_f32 v30, v32, v26, -v48
	v_fmac_f32_e32 v49, v33, v26
	;; [unrolled: 2-line block ×9, first 2 shown]
	v_add_f32_e32 v38, v28, v30
	v_add_f32_e32 v39, v32, v34
	v_sub_f32_e32 v42, v30, v32
	v_sub_f32_e32 v43, v36, v34
	v_sub_f32_e32 v45, v32, v30
	v_sub_f32_e32 v46, v34, v36
	v_add_f32_e32 v47, v29, v49
	v_sub_f32_e32 v52, v49, v53
	v_sub_f32_e32 v54, v61, v57
	v_add_f32_e32 v60, v8, v31
	v_add_f32_e32 v62, v33, v35
	;; [unrolled: 1-line block ×6, first 2 shown]
	v_sub_f32_e32 v40, v49, v61
	v_sub_f32_e32 v41, v53, v57
	v_add_f32_e32 v44, v30, v36
	v_add_f32_e32 v48, v53, v57
	v_sub_f32_e32 v50, v32, v34
	v_add_f32_e32 v56, v49, v61
	v_sub_f32_e32 v49, v53, v49
	v_sub_f32_e32 v58, v57, v61
	;; [unrolled: 1-line block ×8, first 2 shown]
	v_add_f32_e32 v32, v38, v32
	v_fma_f32 v38, -0.5, v39, v28
	v_add_f32_e32 v39, v42, v43
	v_add_f32_e32 v42, v45, v46
	;; [unrolled: 1-line block ×5, first 2 shown]
	v_fma_f32 v47, -0.5, v62, v8
	v_fmac_f32_e32 v8, -0.5, v75
	v_add_f32_e32 v52, v78, v55
	v_fma_f32 v53, -0.5, v79, v9
	v_fmac_f32_e32 v9, -0.5, v83
	v_sub_f32_e32 v67, v37, v35
	v_sub_f32_e32 v77, v35, v37
	v_sub_f32_e32 v81, v51, v55
	v_sub_f32_e32 v82, v63, v59
	v_sub_f32_e32 v51, v55, v51
	v_sub_f32_e32 v84, v59, v63
	v_fma_f32 v28, -0.5, v44, v28
	v_fma_f32 v44, -0.5, v48, v29
	;; [unrolled: 1-line block ×3, first 2 shown]
	v_add_f32_e32 v46, v49, v58
	v_add_f32_e32 v33, v33, v35
	v_fmamk_f32 v35, v64, 0x3f737871, v47
	v_fmac_f32_e32 v47, 0xbf737871, v64
	v_fmamk_f32 v58, v65, 0xbf737871, v8
	v_fmac_f32_e32 v8, 0x3f737871, v65
	v_add_f32_e32 v52, v52, v59
	v_fmamk_f32 v59, v31, 0xbf737871, v53
	v_fmac_f32_e32 v53, 0x3f737871, v31
	v_fmamk_f32 v60, v80, 0x3f737871, v9
	v_fmac_f32_e32 v9, 0xbf737871, v80
	v_sub_f32_e32 v30, v30, v36
	v_add_f32_e32 v48, v66, v67
	v_add_f32_e32 v49, v76, v77
	;; [unrolled: 1-line block ×5, first 2 shown]
	v_fmamk_f32 v34, v40, 0x3f737871, v38
	v_fmac_f32_e32 v38, 0xbf737871, v40
	v_add_f32_e32 v43, v43, v57
	v_fmamk_f32 v67, v50, 0x3f737871, v29
	v_fmac_f32_e32 v29, 0xbf737871, v50
	v_fmac_f32_e32 v35, 0x3f167918, v65
	;; [unrolled: 1-line block ×9, first 2 shown]
	v_fmamk_f32 v56, v41, 0xbf737871, v28
	v_fmac_f32_e32 v28, 0x3f737871, v41
	v_fmamk_f32 v57, v30, 0xbf737871, v44
	v_fmac_f32_e32 v44, 0x3f737871, v30
	v_add_f32_e32 v32, v32, v36
	v_fmac_f32_e32 v34, 0x3f167918, v41
	v_fmac_f32_e32 v38, 0xbf167918, v41
	v_add_f32_e32 v36, v43, v61
	v_fmac_f32_e32 v67, 0xbf167918, v30
	v_fmac_f32_e32 v29, 0x3f167918, v30
	v_add_f32_e32 v30, v33, v37
	v_add_f32_e32 v33, v52, v63
	v_fmac_f32_e32 v35, 0x3e9e377a, v48
	v_fmac_f32_e32 v47, 0x3e9e377a, v48
	;; [unrolled: 1-line block ×14, first 2 shown]
	v_add_f32_e32 v48, v32, v30
	v_add_f32_e32 v49, v36, v33
	v_sub_f32_e32 v54, v32, v30
	v_sub_f32_e32 v55, v36, v33
	v_mul_f32_e32 v30, 0x3f167918, v59
	v_mul_f32_e32 v31, 0x3f737871, v60
	v_mul_f32_e32 v32, 0x3e9e377a, v8
	v_mul_f32_e32 v33, 0x3f4f1bbd, v47
	v_mul_f32_e32 v36, 0xbf167918, v35
	v_mul_f32_e32 v37, 0xbf737871, v58
	v_mul_f32_e32 v39, 0x3e9e377a, v9
	v_mul_f32_e32 v40, 0x3f4f1bbd, v53
	v_fmac_f32_e32 v56, 0x3e9e377a, v42
	v_fmac_f32_e32 v28, 0x3e9e377a, v42
	;; [unrolled: 1-line block ×8, first 2 shown]
	v_fma_f32 v9, 0x3f737871, v9, -v32
	v_fma_f32 v32, 0x3f167918, v53, -v33
	v_fmac_f32_e32 v36, 0x3f4f1bbd, v59
	v_fmac_f32_e32 v37, 0x3e9e377a, v60
	v_fma_f32 v8, 0xbf737871, v8, -v39
	v_fma_f32 v33, 0xbf167918, v47, -v40
	v_add_f32_e32 v50, v34, v30
	v_add_f32_e32 v60, v56, v31
	;; [unrolled: 1-line block ×8, first 2 shown]
	v_sub_f32_e32 v64, v34, v30
	v_sub_f32_e32 v66, v56, v31
	;; [unrolled: 1-line block ×8, first 2 shown]
	ds_write2_b64 v92, v[48:49], v[50:51] offset1:17
	ds_write2_b64 v92, v[60:61], v[62:63] offset0:34 offset1:51
	ds_write2_b64 v92, v[52:53], v[54:55] offset0:68 offset1:85
	;; [unrolled: 1-line block ×4, first 2 shown]
	s_waitcnt lgkmcnt(0)
	s_barrier
	buffer_gl0_inv
	s_and_saveexec_b32 s1, s0
	s_cbranch_execz .LBB0_9
; %bb.8:
	v_add_nc_u32_e32 v8, 0x800, v89
	v_add_nc_u32_e32 v9, 0x1400, v89
	;; [unrolled: 1-line block ×4, first 2 shown]
	ds_read2_b64 v[48:51], v89 offset1:170
	ds_read2_b64 v[60:63], v8 offset0:84 offset1:254
	ds_read2_b64 v[52:55], v9 offset0:40 offset1:210
	;; [unrolled: 1-line block ×4, first 2 shown]
	ds_read_b64 v[73:74], v89 offset:13600
.LBB0_9:
	s_or_b32 exec_lo, exec_lo, s1
	v_add_nc_u32_e32 v8, 0xffffff56, v90
	v_cndmask_b32_e64 v8, v8, v90, s0
	v_mul_i32_i24_e32 v9, 0x50, v8
	v_mul_hi_i32_i24_e32 v28, 0x50, v8
	v_add_co_u32 v8, s1, s2, v9
	v_add_co_ci_u32_e64 v9, s1, s3, v28, s1
	s_clause 0x4
	global_load_dwordx4 v[40:43], v[8:9], off offset:1224
	global_load_dwordx4 v[32:35], v[8:9], off offset:1240
	;; [unrolled: 1-line block ×5, first 2 shown]
	s_waitcnt vmcnt(4) lgkmcnt(5)
	v_mul_f32_e32 v79, v51, v41
	v_mul_f32_e32 v80, v50, v41
	s_waitcnt lgkmcnt(4)
	v_mul_f32_e32 v81, v61, v43
	v_mul_f32_e32 v82, v60, v43
	s_waitcnt vmcnt(2) lgkmcnt(2)
	v_mul_f32_e32 v77, v64, v31
	s_waitcnt vmcnt(1) lgkmcnt(1)
	v_mul_f32_e32 v94, v57, v39
	v_mul_f32_e32 v8, v56, v39
	s_waitcnt vmcnt(0) lgkmcnt(0)
	v_mul_f32_e32 v96, v74, v47
	v_mul_f32_e32 v76, v73, v47
	v_fma_f32 v79, v50, v40, -v79
	v_fmac_f32_e32 v80, v51, v40
	v_mul_f32_e32 v83, v63, v33
	v_mul_f32_e32 v84, v62, v33
	;; [unrolled: 1-line block ×11, first 2 shown]
	v_fma_f32 v60, v60, v42, -v81
	v_fmac_f32_e32 v82, v61, v42
	v_fmac_f32_e32 v77, v65, v30
	v_fma_f32 v50, v56, v38, -v94
	v_fmac_f32_e32 v8, v57, v38
	v_fma_f32 v65, v73, v46, -v96
	v_fmac_f32_e32 v76, v74, v46
	v_add_f32_e32 v56, v48, v79
	v_add_f32_e32 v57, v49, v80
	v_fma_f32 v61, v62, v32, -v83
	v_fmac_f32_e32 v84, v63, v32
	v_fma_f32 v52, v52, v34, -v85
	v_fmac_f32_e32 v86, v53, v34
	;; [unrolled: 2-line block ×3, first 2 shown]
	v_fma_f32 v55, v64, v30, -v88
	v_fma_f32 v51, v66, v36, -v93
	v_fmac_f32_e32 v9, v67, v36
	v_fma_f32 v54, v58, v44, -v95
	v_fmac_f32_e32 v75, v59, v44
	v_sub_f32_e32 v62, v79, v65
	v_sub_f32_e32 v63, v80, v76
	v_add_f32_e32 v56, v56, v60
	v_add_f32_e32 v57, v57, v82
	;; [unrolled: 1-line block ×6, first 2 shown]
	v_sub_f32_e32 v67, v60, v54
	v_sub_f32_e32 v73, v82, v75
	;; [unrolled: 1-line block ×8, first 2 shown]
	v_mul_f32_e32 v60, 0xbf0a6770, v63
	v_mul_f32_e32 v82, 0xbf0a6770, v62
	;; [unrolled: 1-line block ×10, first 2 shown]
	v_add_f32_e32 v56, v56, v61
	v_add_f32_e32 v57, v57, v84
	;; [unrolled: 1-line block ×8, first 2 shown]
	v_mul_f32_e32 v103, 0xbf68dda4, v73
	v_mul_f32_e32 v104, 0xbf68dda4, v67
	;; [unrolled: 1-line block ×40, first 2 shown]
	v_fma_f32 v61, 0x3f575c64, v58, -v60
	v_fmamk_f32 v84, v59, 0x3f575c64, v82
	v_fmac_f32_e32 v60, 0x3f575c64, v58
	v_fma_f32 v82, 0x3f575c64, v59, -v82
	v_fma_f32 v135, 0x3ed4b147, v58, -v97
	v_fmamk_f32 v136, v59, 0x3ed4b147, v98
	v_fmac_f32_e32 v97, 0x3ed4b147, v58
	v_fma_f32 v98, 0x3ed4b147, v59, -v98
	;; [unrolled: 4-line block ×5, first 2 shown]
	v_add_f32_e32 v52, v56, v52
	v_add_f32_e32 v56, v57, v86
	v_fma_f32 v59, 0x3ed4b147, v64, -v103
	v_fmamk_f32 v62, v66, 0x3ed4b147, v104
	v_fmac_f32_e32 v103, 0x3ed4b147, v64
	v_fma_f32 v104, 0x3ed4b147, v66, -v104
	v_fma_f32 v143, 0xbf27a4f4, v64, -v105
	v_fmamk_f32 v144, v66, 0xbf27a4f4, v106
	v_fmac_f32_e32 v105, 0xbf27a4f4, v64
	v_fma_f32 v106, 0xbf27a4f4, v66, -v106
	;; [unrolled: 4-line block ×20, first 2 shown]
	v_add_f32_e32 v57, v48, v61
	v_add_f32_e32 v61, v49, v84
	;; [unrolled: 1-line block ×112, first 2 shown]
	s_and_saveexec_b32 s1, s0
	s_cbranch_execz .LBB0_11
; %bb.10:
	v_add_nc_u32_e32 v73, 0x800, v89
	v_add_nc_u32_e32 v74, 0x1400, v89
	;; [unrolled: 1-line block ×4, first 2 shown]
	ds_write2_b64 v89, v[48:49], v[50:51] offset1:170
	ds_write2_b64 v73, v[56:57], v[58:59] offset0:84 offset1:254
	ds_write2_b64 v74, v[52:53], v[54:55] offset0:40 offset1:210
	;; [unrolled: 1-line block ×4, first 2 shown]
	ds_write_b64 v89, v[8:9] offset:13600
.LBB0_11:
	s_or_b32 exec_lo, exec_lo, s1
	s_waitcnt lgkmcnt(0)
	s_barrier
	buffer_gl0_inv
	s_and_saveexec_b32 s2, vcc_lo
	s_cbranch_execz .LBB0_13
; %bb.12:
	v_add_co_u32 v83, s1, s12, v89
	v_add_co_ci_u32_e64 v84, null, s13, 0, s1
	v_add_nc_u32_e32 v142, 0x800, v89
	v_add_co_u32 v73, s1, 0x3800, v83
	v_add_co_ci_u32_e64 v74, s1, 0, v84, s1
	v_add_co_u32 v75, s1, 0x3a70, v83
	v_add_co_ci_u32_e64 v76, s1, 0, v84, s1
	global_load_dwordx2 v[73:74], v[73:74], off offset:624
	v_add_co_u32 v77, s1, 0x4000, v83
	v_add_co_ci_u32_e64 v78, s1, 0, v84, s1
	v_add_co_u32 v79, s1, 0x4800, v83
	v_add_co_ci_u32_e64 v80, s1, 0, v84, s1
	;; [unrolled: 2-line block ×3, first 2 shown]
	s_clause 0x2
	global_load_dwordx2 v[109:110], v[75:76], off offset:880
	global_load_dwordx2 v[111:112], v[77:78], off offset:1216
	;; [unrolled: 1-line block ×3, first 2 shown]
	v_add_co_u32 v75, s1, 0x5800, v83
	v_add_co_ci_u32_e64 v76, s1, 0, v84, s1
	v_add_co_u32 v77, s1, 0x6000, v83
	v_add_co_ci_u32_e64 v78, s1, 0, v84, s1
	s_clause 0x5
	global_load_dwordx2 v[115:116], v[79:80], off offset:48
	global_load_dwordx2 v[117:118], v[79:80], off offset:928
	;; [unrolled: 1-line block ×6, first 2 shown]
	v_add_co_u32 v79, s1, 0x6800, v83
	v_add_co_ci_u32_e64 v80, s1, 0, v84, s1
	s_clause 0x3
	global_load_dwordx2 v[127:128], v[75:76], off offset:1232
	global_load_dwordx2 v[129:130], v[77:78], off offset:64
	;; [unrolled: 1-line block ×4, first 2 shown]
	v_add_co_u32 v75, s1, 0x7000, v83
	v_add_co_ci_u32_e64 v76, s1, 0, v84, s1
	s_clause 0x2
	global_load_dwordx2 v[135:136], v[79:80], off offset:656
	global_load_dwordx2 v[137:138], v[79:80], off offset:1536
	;; [unrolled: 1-line block ×3, first 2 shown]
	ds_read_b64 v[75:76], v89
	v_add_nc_u32_e32 v143, 0x1000, v89
	v_add_nc_u32_e32 v144, 0x1800, v89
	v_add_nc_u32_e32 v145, 0x1c00, v89
	v_add_nc_u32_e32 v146, 0x2400, v89
	v_add_nc_u32_e32 v147, 0x2c00, v89
	v_add_nc_u32_e32 v148, 0x3000, v89
	s_waitcnt vmcnt(16) lgkmcnt(0)
	v_mul_f32_e32 v77, v76, v74
	v_mul_f32_e32 v78, v75, v74
	v_fma_f32 v77, v75, v73, -v77
	v_fmac_f32_e32 v78, v76, v73
	ds_write_b64 v89, v[77:78]
	ds_read2_b64 v[73:76], v89 offset0:110 offset1:220
	ds_read2_b64 v[77:80], v142 offset0:74 offset1:184
	;; [unrolled: 1-line block ×8, first 2 shown]
	s_waitcnt vmcnt(15) lgkmcnt(7)
	v_mul_f32_e32 v149, v74, v110
	v_mul_f32_e32 v141, v73, v110
	s_waitcnt vmcnt(13)
	v_mul_f32_e32 v150, v76, v114
	v_mul_f32_e32 v110, v75, v114
	s_waitcnt lgkmcnt(6)
	v_mul_f32_e32 v151, v78, v112
	v_mul_f32_e32 v114, v77, v112
	s_waitcnt vmcnt(12)
	v_mul_f32_e32 v152, v80, v116
	v_mul_f32_e32 v112, v79, v116
	s_waitcnt vmcnt(11) lgkmcnt(5)
	v_mul_f32_e32 v153, v82, v118
	v_mul_f32_e32 v116, v81, v118
	s_waitcnt vmcnt(10)
	v_mul_f32_e32 v154, v84, v120
	v_mul_f32_e32 v118, v83, v120
	s_waitcnt vmcnt(9) lgkmcnt(4)
	;; [unrolled: 6-line block ×6, first 2 shown]
	v_mul_f32_e32 v163, v106, v138
	v_mul_f32_e32 v136, v105, v138
	s_waitcnt vmcnt(0)
	v_mul_f32_e32 v164, v108, v140
	v_mul_f32_e32 v138, v107, v140
	v_fma_f32 v140, v73, v109, -v149
	v_fmac_f32_e32 v141, v74, v109
	v_fma_f32 v109, v75, v113, -v150
	v_fmac_f32_e32 v110, v76, v113
	;; [unrolled: 2-line block ×16, first 2 shown]
	ds_write2_b64 v89, v[140:141], v[109:110] offset0:110 offset1:220
	ds_write2_b64 v142, v[113:114], v[111:112] offset0:74 offset1:184
	;; [unrolled: 1-line block ×8, first 2 shown]
.LBB0_13:
	s_or_b32 exec_lo, exec_lo, s2
	s_waitcnt lgkmcnt(0)
	s_barrier
	buffer_gl0_inv
	s_and_saveexec_b32 s1, vcc_lo
	s_cbranch_execz .LBB0_15
; %bb.14:
	v_add_nc_u32_e32 v0, 0x400, v89
	v_add_nc_u32_e32 v1, 0xc00, v89
	;; [unrolled: 1-line block ×3, first 2 shown]
	ds_read2_b64 v[48:51], v89 offset1:110
	v_add_nc_u32_e32 v3, 0x2800, v89
	ds_read2_b64 v[56:59], v0 offset0:92 offset1:202
	ds_read2_b64 v[52:55], v1 offset0:56 offset1:166
	v_add_nc_u32_e32 v0, 0x1800, v89
	v_add_nc_u32_e32 v1, 0x2000, v89
	;; [unrolled: 1-line block ×3, first 2 shown]
	ds_read2_b64 v[64:67], v2 offset0:20 offset1:130
	ds_read2_b64 v[60:63], v0 offset0:112 offset1:222
	;; [unrolled: 1-line block ×5, first 2 shown]
	ds_read_b64 v[69:70], v89 offset:14080
.LBB0_15:
	s_or_b32 exec_lo, exec_lo, s1
	s_waitcnt lgkmcnt(0)
	v_sub_f32_e32 v87, v51, v70
	v_add_f32_e32 v88, v70, v51
	v_add_f32_e32 v93, v69, v50
	v_sub_f32_e32 v98, v50, v69
	v_sub_f32_e32 v110, v57, v3
	v_mul_f32_e32 v75, 0xbf06c442, v87
	v_mul_f32_e32 v76, 0xbf59a7d5, v88
	v_add_f32_e32 v125, v3, v57
	v_add_f32_e32 v94, v2, v56
	v_sub_f32_e32 v95, v56, v2
	v_fma_f32 v73, 0xbf59a7d5, v93, -v75
	v_fmamk_f32 v74, v98, 0xbf06c442, v76
	v_mul_f32_e32 v78, 0x3f65296c, v110
	v_mul_f32_e32 v82, 0x3ee437d1, v125
	v_sub_f32_e32 v109, v59, v1
	v_add_f32_e32 v126, v1, v59
	v_add_f32_e32 v73, v48, v73
	v_add_f32_e32 v74, v49, v74
	v_fma_f32 v79, 0x3ee437d1, v94, -v78
	v_fmamk_f32 v80, v95, 0x3f65296c, v82
	v_add_f32_e32 v96, v0, v58
	v_mul_f32_e32 v77, 0xbf7ee86f, v109
	v_sub_f32_e32 v97, v58, v0
	v_mul_f32_e32 v85, 0x3dbcf732, v126
	v_sub_f32_e32 v111, v53, v7
	v_add_f32_e32 v132, v7, v53
	v_add_f32_e32 v73, v79, v73
	v_add_f32_e32 v74, v80, v74
	v_fma_f32 v80, 0x3dbcf732, v96, -v77
	v_fmamk_f32 v81, v97, 0xbf7ee86f, v85
	v_add_f32_e32 v99, v6, v52
	v_sub_f32_e32 v100, v52, v6
	v_mul_f32_e32 v79, 0x3f4c4adb, v111
	v_mul_f32_e32 v130, 0xbf1a4643, v132
	v_sub_f32_e32 v112, v55, v5
	v_add_f32_e32 v135, v5, v55
	v_add_f32_e32 v73, v80, v73
	v_add_f32_e32 v74, v81, v74
	v_fma_f32 v81, 0xbf1a4643, v99, -v79
	v_fmamk_f32 v83, v100, 0x3f4c4adb, v130
	v_add_f32_e32 v101, v4, v54
	v_mul_f32_e32 v80, 0xbeb8f4ab, v112
	v_sub_f32_e32 v102, v54, v4
	v_mul_f32_e32 v136, 0x3f6eb680, v135
	v_sub_f32_e32 v113, v65, v11
	v_add_f32_e32 v142, v11, v65
	v_add_f32_e32 v73, v81, v73
	v_add_f32_e32 v74, v83, v74
	v_fma_f32 v83, 0x3f6eb680, v101, -v80
	v_fmamk_f32 v84, v102, 0xbeb8f4ab, v136
	v_add_f32_e32 v103, v10, v64
	v_sub_f32_e32 v104, v64, v10
	;; [unrolled: 20-line block ×3, first 2 shown]
	v_mul_f32_e32 v83, 0xbf763a35, v115
	v_mul_f32_e32 v139, 0xbe8c1d8e, v121
	v_add_f32_e32 v73, v116, v73
	v_add_f32_e32 v74, v117, v74
	v_fma_f32 v116, 0xbe8c1d8e, v107, -v83
	v_fmamk_f32 v117, v108, 0xbf763a35, v139
	s_barrier
	buffer_gl0_inv
	v_add_f32_e32 v73, v116, v73
	v_add_f32_e32 v74, v117, v74
	s_and_saveexec_b32 s1, vcc_lo
	s_cbranch_execz .LBB0_17
; %bb.16:
	v_mul_f32_e32 v124, 0xbf7ba420, v88
	v_mul_f32_e32 v116, 0x3f6eb680, v125
	;; [unrolled: 1-line block ×5, first 2 shown]
	v_fmamk_f32 v118, v98, 0x3e3c28d5, v124
	v_fmamk_f32 v119, v95, 0xbeb8f4ab, v116
	;; [unrolled: 1-line block ×5, first 2 shown]
	v_add_f32_e32 v118, v49, v118
	v_mul_f32_e32 v127, 0xbf06c442, v98
	v_mul_f32_e32 v134, 0x3f65296c, v95
	v_add_f32_e32 v133, v48, v133
	v_mul_f32_e32 v145, 0xbf7ee86f, v97
	v_add_f32_e32 v119, v119, v118
	v_mul_f32_e32 v118, 0x3f3d2fb0, v132
	v_sub_f32_e32 v76, v76, v127
	v_add_f32_e32 v154, v154, v133
	v_mul_f32_e32 v133, 0x3f2c7751, v111
	v_add_f32_e32 v120, v120, v119
	v_fmamk_f32 v122, v100, 0xbf2c7751, v118
	v_mul_f32_e32 v119, 0xbf1a4643, v135
	v_add_f32_e32 v76, v49, v76
	v_sub_f32_e32 v82, v82, v134
	v_mul_f32_e32 v138, 0xbf59a7d5, v93
	v_add_f32_e32 v120, v122, v120
	v_fmamk_f32 v131, v102, 0x3f4c4adb, v119
	v_mul_f32_e32 v122, 0x3ee437d1, v142
	v_mul_f32_e32 v146, 0x3f4c4adb, v100
	v_add_f32_e32 v82, v82, v76
	v_sub_f32_e32 v85, v85, v145
	v_add_f32_e32 v140, v131, v120
	v_fmamk_f32 v141, v104, 0xbf65296c, v122
	v_mul_f32_e32 v120, 0xbe8c1d8e, v123
	v_mul_f32_e32 v131, 0xbf06c442, v109
	v_mul_f32_e32 v143, 0x3ee437d1, v94
	v_mul_f32_e32 v149, 0xbeb8f4ab, v102
	v_add_f32_e32 v140, v141, v140
	v_fmamk_f32 v141, v106, 0x3f763a35, v120
	v_fmamk_f32 v156, v96, 0xbf59a7d5, v131
	v_add_f32_e32 v82, v85, v82
	v_sub_f32_e32 v85, v130, v146
	v_add_f32_e32 v75, v138, v75
	v_add_f32_e32 v158, v141, v140
	v_add_f32_e32 v141, v156, v154
	v_fmamk_f32 v154, v99, 0x3f3d2fb0, v133
	v_mul_f32_e32 v140, 0xbf4c4adb, v112
	v_mul_f32_e32 v144, 0x3dbcf732, v96
	;; [unrolled: 1-line block ×4, first 2 shown]
	v_add_f32_e32 v134, v154, v141
	v_fmamk_f32 v154, v101, 0xbf1a4643, v140
	v_mul_f32_e32 v141, 0x3f65296c, v113
	v_add_f32_e32 v82, v85, v82
	v_sub_f32_e32 v85, v136, v149
	v_add_f32_e32 v75, v48, v75
	v_add_f32_e32 v145, v154, v134
	v_fmamk_f32 v154, v103, 0x3ee437d1, v141
	v_mul_f32_e32 v134, 0xbf763a35, v114
	v_add_f32_e32 v78, v143, v78
	v_mul_f32_e32 v147, 0xbf1a4643, v99
	v_fmamk_f32 v138, v107, 0x3dbcf732, v130
	v_add_f32_e32 v145, v154, v145
	v_fmamk_f32 v146, v105, 0xbe8c1d8e, v134
	v_add_f32_e32 v82, v85, v82
	v_sub_f32_e32 v85, v86, v151
	v_add_f32_e32 v78, v78, v75
	v_add_f32_e32 v77, v144, v77
	;; [unrolled: 1-line block ×3, first 2 shown]
	v_mul_f32_e32 v146, 0xbf1a4643, v88
	v_mul_f32_e32 v144, 0xbe8c1d8e, v125
	;; [unrolled: 1-line block ×4, first 2 shown]
	v_add_f32_e32 v75, v138, v136
	v_fmamk_f32 v86, v98, 0x3f4c4adb, v146
	v_add_f32_e32 v82, v85, v82
	v_add_f32_e32 v77, v77, v78
	;; [unrolled: 1-line block ×3, first 2 shown]
	v_fmamk_f32 v85, v95, 0xbf763a35, v144
	v_add_f32_e32 v79, v49, v86
	v_mul_f32_e32 v136, 0x3f6eb680, v126
	v_mul_f32_e32 v150, 0xbf7ba420, v103
	v_sub_f32_e32 v86, v137, v153
	v_add_f32_e32 v77, v78, v77
	v_add_f32_e32 v78, v148, v80
	v_add_f32_e32 v79, v85, v79
	v_fmamk_f32 v80, v97, 0x3eb8f4ab, v136
	v_mul_f32_e32 v137, 0xbf59a7d5, v132
	v_mul_f32_e32 v152, 0x3f3d2fb0, v105
	;; [unrolled: 1-line block ×3, first 2 shown]
	v_add_f32_e32 v77, v78, v77
	v_add_f32_e32 v78, v150, v81
	;; [unrolled: 1-line block ×3, first 2 shown]
	v_fmamk_f32 v80, v100, 0x3f06c442, v137
	v_mul_f32_e32 v138, 0x3dbcf732, v135
	v_mul_f32_e32 v155, 0xbe8c1d8e, v107
	v_add_f32_e32 v82, v86, v82
	v_sub_f32_e32 v81, v139, v157
	v_add_f32_e32 v77, v78, v77
	v_add_f32_e32 v84, v152, v84
	;; [unrolled: 1-line block ×3, first 2 shown]
	v_fmamk_f32 v80, v102, 0xbf7ee86f, v138
	v_mul_f32_e32 v139, 0x3f3d2fb0, v142
	v_mul_f32_e32 v150, 0xbf4c4adb, v87
	v_add_f32_e32 v78, v81, v82
	v_add_f32_e32 v77, v84, v77
	;; [unrolled: 1-line block ×3, first 2 shown]
	v_fmamk_f32 v80, v104, 0x3f2c7751, v139
	v_mul_f32_e32 v143, 0xbf7ba420, v123
	v_add_f32_e32 v81, v155, v83
	v_fmamk_f32 v82, v93, 0xbf1a4643, v150
	v_mul_f32_e32 v154, 0x3f763a35, v110
	v_add_f32_e32 v79, v80, v79
	v_fmamk_f32 v80, v106, 0x3e3c28d5, v143
	v_add_f32_e32 v77, v81, v77
	v_add_f32_e32 v81, v48, v82
	v_fmamk_f32 v82, v94, 0xbe8c1d8e, v154
	v_mul_f32_e32 v147, 0xbeb8f4ab, v109
	v_mul_f32_e32 v172, 0xbe8c1d8e, v88
	v_add_f32_e32 v79, v80, v79
	v_mul_f32_e32 v165, 0xbf06c442, v111
	v_add_f32_e32 v80, v82, v81
	v_fmamk_f32 v81, v96, 0x3f6eb680, v147
	v_fmamk_f32 v83, v98, 0x3f763a35, v172
	v_mul_f32_e32 v173, 0xbf59a7d5, v125
	v_mul_f32_e32 v166, 0x3f7ee86f, v112
	;; [unrolled: 1-line block ×3, first 2 shown]
	v_add_f32_e32 v80, v81, v80
	v_fmamk_f32 v81, v99, 0xbf59a7d5, v165
	v_add_f32_e32 v83, v49, v83
	v_fmamk_f32 v84, v95, 0xbf06c442, v173
	v_mul_f32_e32 v145, 0x3ee437d1, v121
	v_mul_f32_e32 v167, 0xbf2c7751, v113
	v_add_f32_e32 v80, v81, v80
	v_fmamk_f32 v81, v101, 0x3dbcf732, v166
	v_add_f32_e32 v83, v84, v83
	v_fmamk_f32 v84, v97, 0xbf2c7751, v174
	v_mul_f32_e32 v175, 0x3ee437d1, v132
	v_fmamk_f32 v82, v108, 0xbf65296c, v145
	v_add_f32_e32 v80, v81, v80
	v_fmamk_f32 v81, v103, 0x3f3d2fb0, v167
	v_mul_f32_e32 v168, 0xbe3c28d5, v114
	v_add_f32_e32 v83, v84, v83
	v_fmamk_f32 v84, v100, 0x3f65296c, v175
	v_mul_f32_e32 v176, 0xbf7ba420, v135
	v_mul_f32_e32 v127, 0x3dbcf732, v121
	v_add_f32_e32 v81, v81, v80
	v_fmamk_f32 v85, v105, 0xbf7ba420, v168
	v_add_f32_e32 v80, v82, v79
	v_add_f32_e32 v79, v84, v83
	v_fmamk_f32 v82, v102, 0x3e3c28d5, v176
	v_mul_f32_e32 v152, 0x3dbcf732, v142
	v_mul_f32_e32 v159, 0x3f65296c, v115
	v_mul_f32_e32 v180, 0xbf763a35, v87
	v_fmamk_f32 v156, v108, 0xbf7ee86f, v127
	v_add_f32_e32 v81, v85, v81
	v_add_f32_e32 v79, v82, v79
	v_fmamk_f32 v82, v104, 0xbf7ee86f, v152
	v_mul_f32_e32 v148, 0x3f6eb680, v123
	v_fmamk_f32 v83, v107, 0x3ee437d1, v159
	v_fmamk_f32 v84, v93, 0xbe8c1d8e, v180
	v_mul_f32_e32 v182, 0x3f06c442, v110
	v_add_f32_e32 v76, v156, v158
	v_add_f32_e32 v82, v82, v79
	v_fmamk_f32 v85, v106, 0x3eb8f4ab, v148
	v_add_f32_e32 v79, v83, v81
	v_add_f32_e32 v81, v48, v84
	v_fmamk_f32 v83, v94, 0xbf59a7d5, v182
	v_mul_f32_e32 v156, 0x3f2c7751, v109
	v_mul_f32_e32 v186, 0x3dbcf732, v88
	v_add_f32_e32 v82, v85, v82
	v_mul_f32_e32 v149, 0xbf65296c, v111
	v_add_f32_e32 v81, v83, v81
	v_fmamk_f32 v83, v96, 0x3f3d2fb0, v156
	v_fmamk_f32 v85, v98, 0x3f7ee86f, v186
	v_mul_f32_e32 v158, 0xbf7ba420, v125
	v_mul_f32_e32 v151, 0xbe3c28d5, v112
	;; [unrolled: 1-line block ×3, first 2 shown]
	v_add_f32_e32 v81, v83, v81
	v_fmamk_f32 v83, v99, 0x3ee437d1, v149
	v_add_f32_e32 v85, v49, v85
	v_fmamk_f32 v86, v95, 0x3e3c28d5, v158
	v_mul_f32_e32 v153, 0xbf1a4643, v121
	v_mul_f32_e32 v155, 0x3f7ee86f, v113
	v_add_f32_e32 v81, v83, v81
	v_fmamk_f32 v83, v101, 0xbf7ba420, v151
	v_add_f32_e32 v85, v86, v85
	v_fmamk_f32 v86, v97, 0xbf763a35, v160
	v_mul_f32_e32 v169, 0x3f6eb680, v132
	v_fmamk_f32 v84, v108, 0x3f4c4adb, v153
	v_add_f32_e32 v81, v83, v81
	v_fmamk_f32 v83, v103, 0x3dbcf732, v155
	v_mul_f32_e32 v157, 0xbeb8f4ab, v114
	v_add_f32_e32 v85, v86, v85
	v_fmamk_f32 v86, v100, 0xbeb8f4ab, v169
	v_mul_f32_e32 v170, 0x3ee437d1, v135
	v_add_f32_e32 v81, v83, v81
	v_fmamk_f32 v83, v105, 0x3f6eb680, v157
	v_add_f32_e32 v82, v84, v82
	v_add_f32_e32 v84, v86, v85
	v_fmamk_f32 v85, v102, 0x3f65296c, v170
	v_mul_f32_e32 v171, 0xbf59a7d5, v142
	v_mul_f32_e32 v178, 0xbf4c4adb, v115
	;; [unrolled: 1-line block ×3, first 2 shown]
	v_add_f32_e32 v81, v83, v81
	v_add_f32_e32 v83, v85, v84
	v_fmamk_f32 v84, v104, 0x3f06c442, v171
	v_mul_f32_e32 v177, 0xbf1a4643, v123
	v_fmamk_f32 v85, v107, 0xbf1a4643, v178
	v_fmamk_f32 v86, v93, 0x3dbcf732, v189
	v_mul_f32_e32 v190, 0xbe3c28d5, v110
	v_add_f32_e32 v83, v84, v83
	v_fmamk_f32 v84, v106, 0xbf4c4adb, v177
	v_add_f32_e32 v81, v85, v81
	v_add_f32_e32 v85, v48, v86
	v_fmamk_f32 v86, v94, 0xbf7ba420, v190
	v_mul_f32_e32 v191, 0x3f763a35, v109
	v_mul_f32_e32 v187, 0x3ee437d1, v88
	v_add_f32_e32 v83, v84, v83
	v_mul_f32_e32 v209, 0x3eb8f4ab, v111
	v_add_f32_e32 v84, v86, v85
	v_fmamk_f32 v85, v96, 0xbe8c1d8e, v191
	v_fmamk_f32 v161, v98, 0x3f65296c, v187
	v_mul_f32_e32 v183, 0xbf1a4643, v125
	v_mul_f32_e32 v210, 0xbf65296c, v112
	v_mul_f32_e32 v181, 0x3f3d2fb0, v121
	v_add_f32_e32 v84, v85, v84
	v_fmamk_f32 v85, v99, 0x3f6eb680, v209
	v_add_f32_e32 v162, v49, v161
	v_fmamk_f32 v163, v95, 0x3f4c4adb, v183
	v_mul_f32_e32 v161, 0xbf7ba420, v126
	v_mul_f32_e32 v211, 0xbf06c442, v113
	v_add_f32_e32 v84, v85, v84
	v_fmamk_f32 v85, v101, 0x3ee437d1, v210
	v_add_f32_e32 v163, v163, v162
	v_fmamk_f32 v164, v97, 0xbe3c28d5, v161
	v_mul_f32_e32 v162, 0xbe8c1d8e, v132
	v_fmamk_f32 v86, v108, 0xbf2c7751, v181
	v_add_f32_e32 v84, v85, v84
	v_fmamk_f32 v85, v103, 0xbf59a7d5, v211
	v_mul_f32_e32 v204, 0x3f4c4adb, v114
	v_add_f32_e32 v164, v164, v163
	v_fmamk_f32 v179, v100, 0xbf763a35, v162
	v_mul_f32_e32 v163, 0x3f3d2fb0, v135
	v_add_f32_e32 v85, v85, v84
	v_fmamk_f32 v184, v105, 0xbf1a4643, v204
	v_add_f32_e32 v84, v86, v83
	v_add_f32_e32 v83, v179, v164
	v_fmamk_f32 v86, v102, 0xbf2c7751, v163
	v_mul_f32_e32 v164, 0x3f6eb680, v142
	v_mul_f32_e32 v193, 0x3f2c7751, v115
	;; [unrolled: 1-line block ×3, first 2 shown]
	v_add_f32_e32 v85, v184, v85
	v_add_f32_e32 v83, v86, v83
	v_fmamk_f32 v86, v104, 0x3eb8f4ab, v164
	v_fmamk_f32 v184, v107, 0x3f3d2fb0, v193
	;; [unrolled: 1-line block ×3, first 2 shown]
	v_mul_f32_e32 v202, 0xbf4c4adb, v110
	v_mul_f32_e32 v192, 0x3e3c28d5, v109
	v_add_f32_e32 v86, v86, v83
	v_add_f32_e32 v83, v184, v85
	;; [unrolled: 1-line block ×3, first 2 shown]
	v_fmamk_f32 v185, v94, 0xbf1a4643, v202
	v_mul_f32_e32 v212, 0x3f3d2fb0, v88
	v_mul_f32_e32 v205, 0x3f763a35, v111
	;; [unrolled: 1-line block ×4, first 2 shown]
	v_add_f32_e32 v85, v185, v85
	v_fmamk_f32 v185, v96, 0xbf7ba420, v192
	v_fmamk_f32 v194, v98, 0x3f2c7751, v212
	v_mul_f32_e32 v206, 0x3f2c7751, v112
	v_fmamk_f32 v195, v95, 0x3f7ee86f, v213
	v_mul_f32_e32 v214, 0xbf1a4643, v126
	v_add_f32_e32 v85, v185, v85
	v_fmamk_f32 v185, v99, 0xbe8c1d8e, v205
	v_add_f32_e32 v194, v49, v194
	v_fmamk_f32 v188, v106, 0x3f7ee86f, v179
	v_mul_f32_e32 v184, 0xbf59a7d5, v121
	v_mul_f32_e32 v207, 0xbeb8f4ab, v113
	v_add_f32_e32 v85, v185, v85
	v_fmamk_f32 v185, v101, 0x3f3d2fb0, v206
	v_add_f32_e32 v194, v195, v194
	v_fmamk_f32 v195, v97, 0x3f4c4adb, v214
	v_mul_f32_e32 v215, 0xbf7ba420, v132
	v_add_f32_e32 v86, v188, v86
	v_fmamk_f32 v188, v108, 0x3f06c442, v184
	v_add_f32_e32 v85, v185, v85
	v_fmamk_f32 v185, v103, 0x3f6eb680, v207
	v_mul_f32_e32 v208, 0xbf7ee86f, v114
	v_add_f32_e32 v194, v195, v194
	v_fmamk_f32 v195, v100, 0x3e3c28d5, v215
	v_mul_f32_e32 v216, 0xbf59a7d5, v135
	v_add_f32_e32 v85, v185, v85
	v_fmamk_f32 v185, v105, 0x3dbcf732, v208
	v_add_f32_e32 v86, v188, v86
	v_add_f32_e32 v188, v195, v194
	v_fmamk_f32 v194, v102, 0xbf06c442, v216
	v_mul_f32_e32 v200, 0xbe8c1d8e, v142
	v_add_f32_e32 v85, v185, v85
	v_mul_f32_e32 v218, 0xbf2c7751, v87
	v_mul_f32_e32 v219, 0xbf7ee86f, v110
	v_add_f32_e32 v185, v194, v188
	v_fmamk_f32 v188, v104, 0xbf763a35, v200
	v_mul_f32_e32 v194, 0x3ee437d1, v123
	v_fmamk_f32 v195, v93, 0x3f3d2fb0, v218
	v_mul_f32_e32 v217, 0xbf06c442, v115
	v_fmamk_f32 v198, v94, 0x3dbcf732, v219
	v_add_f32_e32 v185, v188, v185
	v_fmamk_f32 v197, v106, 0xbf65296c, v194
	v_add_f32_e32 v195, v48, v195
	v_fmamk_f32 v196, v107, 0xbf59a7d5, v217
	v_mul_f32_e32 v188, 0xbf4c4adb, v109
	v_mul_f32_e32 v135, 0xbe8c1d8e, v135
	v_add_f32_e32 v220, v197, v185
	v_mul_f32_e32 v197, 0x3f6eb680, v88
	v_add_f32_e32 v88, v198, v195
	;; [unrolled: 2-line block ×3, first 2 shown]
	v_fmamk_f32 v196, v96, 0xbf1a4643, v188
	v_fmamk_f32 v201, v98, 0x3eb8f4ab, v197
	v_mul_f32_e32 v195, 0xbe3c28d5, v111
	v_fmamk_f32 v221, v95, 0x3f2c7751, v198
	v_mul_f32_e32 v185, 0x3f6eb680, v121
	v_add_f32_e32 v88, v196, v88
	v_add_f32_e32 v203, v49, v201
	v_mul_f32_e32 v201, 0x3ee437d1, v126
	v_fmamk_f32 v125, v99, 0xbf7ba420, v195
	v_mul_f32_e32 v196, 0x3f06c442, v112
	v_mul_f32_e32 v126, 0x3f763a35, v113
	v_add_f32_e32 v221, v221, v203
	v_fmamk_f32 v222, v97, 0x3f65296c, v201
	v_mul_f32_e32 v203, 0x3dbcf732, v132
	v_add_f32_e32 v88, v125, v88
	v_fmamk_f32 v125, v101, 0xbf59a7d5, v196
	;; [unrolled: 3-line block ×4, first 2 shown]
	v_add_f32_e32 v51, v51, v49
	v_add_f32_e32 v221, v222, v221
	v_fmamk_f32 v222, v102, 0x3f763a35, v135
	v_fmamk_f32 v223, v105, 0x3ee437d1, v132
	v_add_f32_e32 v88, v125, v88
	v_fmamk_f32 v224, v108, 0xbeb8f4ab, v185
	v_mul_f32_e32 v226, 0xbeb8f4ab, v87
	v_add_f32_e32 v221, v222, v221
	v_fmamk_f32 v222, v104, 0x3f4c4adb, v142
	v_add_f32_e32 v51, v57, v51
	v_add_f32_e32 v50, v50, v48
	;; [unrolled: 1-line block ×5, first 2 shown]
	v_fmamk_f32 v221, v93, 0x3f6eb680, v226
	v_mul_f32_e32 v110, 0xbf2c7751, v110
	v_add_f32_e32 v51, v59, v51
	v_add_f32_e32 v50, v56, v50
	v_mul_f32_e32 v57, 0xbf59a7d5, v123
	v_add_f32_e32 v123, v48, v221
	v_fmamk_f32 v221, v94, 0x3f3d2fb0, v110
	v_mul_f32_e32 v56, 0xbf65296c, v109
	v_add_f32_e32 v51, v53, v51
	v_add_f32_e32 v50, v58, v50
	v_mul_f32_e32 v58, 0xbf7ee86f, v111
	v_add_f32_e32 v109, v221, v123
	v_fmamk_f32 v53, v96, 0x3ee437d1, v56
	v_add_f32_e32 v51, v55, v51
	v_add_f32_e32 v50, v52, v50
	v_mul_f32_e32 v55, 0xbf763a35, v112
	v_fmamk_f32 v59, v106, 0x3f06c442, v57
	v_add_f32_e32 v52, v53, v109
	v_fmamk_f32 v53, v99, 0x3dbcf732, v58
	v_add_f32_e32 v51, v65, v51
	v_add_f32_e32 v50, v54, v50
	v_mul_f32_e32 v54, 0xbf7ba420, v121
	v_add_f32_e32 v59, v59, v220
	v_add_f32_e32 v52, v53, v52
	v_fmamk_f32 v53, v101, 0xbe8c1d8e, v55
	v_add_f32_e32 v51, v67, v51
	v_add_f32_e32 v50, v64, v50
	v_mul_f32_e32 v64, 0xbf4c4adb, v113
	v_fmamk_f32 v65, v108, 0x3e3c28d5, v54
	v_add_f32_e32 v52, v53, v52
	v_add_f32_e32 v53, v61, v51
	;; [unrolled: 1-line block ×3, first 2 shown]
	v_fmamk_f32 v61, v103, 0xbf1a4643, v64
	v_mul_f32_e32 v66, 0xbf06c442, v114
	v_add_f32_e32 v51, v65, v59
	v_add_f32_e32 v53, v63, v53
	;; [unrolled: 1-line block ×4, first 2 shown]
	v_fmamk_f32 v59, v105, 0xbf59a7d5, v66
	v_mul_f32_e32 v60, 0xbe3c28d5, v115
	v_add_f32_e32 v9, v9, v53
	v_add_f32_e32 v50, v62, v50
	v_fmac_f32_e32 v124, 0xbe3c28d5, v98
	v_add_f32_e32 v52, v59, v52
	v_fmamk_f32 v53, v107, 0xbf7ba420, v60
	v_add_f32_e32 v9, v11, v9
	v_add_f32_e32 v8, v8, v50
	v_add_f32_e32 v11, v49, v124
	v_fmac_f32_e32 v116, 0x3eb8f4ab, v95
	v_add_f32_e32 v50, v53, v52
	v_fma_f32 v52, 0xbf7ba420, v93, -v128
	v_add_f32_e32 v5, v5, v9
	v_add_f32_e32 v8, v10, v8
	v_add_f32_e32 v9, v116, v11
	v_fmac_f32_e32 v117, 0xbf06c442, v97
	v_add_f32_e32 v10, v48, v52
	v_fma_f32 v11, 0x3f6eb680, v94, -v129
	;; [unrolled: 6-line block ×5, first 2 shown]
	v_add_f32_e32 v0, v2, v0
	v_fmac_f32_e32 v120, 0xbf763a35, v106
	v_add_f32_e32 v2, v122, v3
	v_fmac_f32_e32 v146, 0xbf4c4adb, v98
	v_add_f32_e32 v3, v5, v4
	v_fma_f32 v4, 0x3ee437d1, v103, -v141
	v_fmac_f32_e32 v127, 0x3f7ee86f, v108
	v_add_f32_e32 v2, v120, v2
	v_fma_f32 v5, 0xbe8c1d8e, v105, -v134
	v_add_f32_e32 v6, v49, v146
	v_add_f32_e32 v4, v4, v3
	v_fmac_f32_e32 v144, 0x3f763a35, v95
	v_add_f32_e32 v3, v127, v2
	v_fma_f32 v2, 0xbf1a4643, v93, -v150
	v_fmac_f32_e32 v136, 0xbeb8f4ab, v97
	v_add_f32_e32 v4, v5, v4
	v_fma_f32 v5, 0x3dbcf732, v107, -v130
	v_add_f32_e32 v6, v144, v6
	v_add_f32_e32 v7, v48, v2
	v_fma_f32 v8, 0xbe8c1d8e, v94, -v154
	v_fmac_f32_e32 v172, 0xbf763a35, v98
	v_add_f32_e32 v2, v5, v4
	v_add_f32_e32 v4, v136, v6
	v_fmac_f32_e32 v137, 0xbf06c442, v100
	v_add_f32_e32 v5, v8, v7
	v_fma_f32 v6, 0x3f6eb680, v96, -v147
	v_add_f32_e32 v7, v49, v172
	v_fmac_f32_e32 v173, 0x3f06c442, v95
	v_add_f32_e32 v4, v137, v4
	v_fmac_f32_e32 v138, 0x3f7ee86f, v102
	v_add_f32_e32 v5, v6, v5
	v_fma_f32 v6, 0xbf59a7d5, v99, -v165
	v_add_f32_e32 v7, v173, v7
	v_fmac_f32_e32 v174, 0x3f2c7751, v97
	;; [unrolled: 6-line block ×5, first 2 shown]
	v_add_f32_e32 v5, v145, v4
	v_fma_f32 v4, 0xbe8c1d8e, v93, -v180
	v_add_f32_e32 v6, v8, v6
	v_fma_f32 v8, 0x3ee437d1, v107, -v159
	v_add_f32_e32 v7, v152, v7
	v_fmac_f32_e32 v148, 0xbeb8f4ab, v106
	v_add_f32_e32 v9, v48, v4
	v_fma_f32 v10, 0xbf59a7d5, v94, -v182
	v_fmac_f32_e32 v186, 0xbf7ee86f, v98
	v_add_f32_e32 v4, v8, v6
	v_add_f32_e32 v6, v148, v7
	v_fmac_f32_e32 v153, 0xbf4c4adb, v108
	v_add_f32_e32 v8, v10, v9
	v_fma_f32 v9, 0x3f3d2fb0, v96, -v156
	v_add_f32_e32 v10, v49, v186
	v_fmac_f32_e32 v158, 0xbe3c28d5, v95
	v_add_f32_e32 v7, v153, v6
	v_fma_f32 v6, 0x3dbcf732, v93, -v189
	v_add_f32_e32 v8, v9, v8
	v_fma_f32 v9, 0x3ee437d1, v99, -v149
	v_add_f32_e32 v10, v158, v10
	v_fmac_f32_e32 v160, 0x3f763a35, v97
	v_add_f32_e32 v6, v48, v6
	v_fma_f32 v11, 0xbf7ba420, v94, -v190
	;; [unrolled: 6-line block ×6, first 2 shown]
	v_add_f32_e32 v6, v9, v8
	v_fmac_f32_e32 v187, 0xbf65296c, v98
	v_add_f32_e32 v8, v177, v10
	v_fmac_f32_e32 v181, 0x3f2c7751, v108
	v_add_f32_e32 v10, v52, v11
	v_fma_f32 v11, 0xbf1a4643, v105, -v204
	v_add_f32_e32 v52, v49, v187
	v_fmac_f32_e32 v183, 0xbf4c4adb, v95
	v_add_f32_e32 v9, v181, v8
	v_fma_f32 v8, 0x3ee437d1, v93, -v199
	v_add_f32_e32 v10, v11, v10
	v_fma_f32 v11, 0x3f3d2fb0, v107, -v193
	v_add_f32_e32 v52, v183, v52
	v_fmac_f32_e32 v161, 0x3e3c28d5, v97
	v_add_f32_e32 v53, v48, v8
	v_fma_f32 v59, 0xbf1a4643, v94, -v202
	v_fmac_f32_e32 v212, 0xbf2c7751, v98
	v_add_f32_e32 v8, v11, v10
	v_add_f32_e32 v10, v161, v52
	v_fmac_f32_e32 v162, 0x3f763a35, v100
	v_add_f32_e32 v11, v59, v53
	v_fma_f32 v52, 0xbf7ba420, v96, -v192
	v_add_f32_e32 v53, v49, v212
	v_fmac_f32_e32 v213, 0xbf7ee86f, v95
	v_add_f32_e32 v10, v162, v10
	v_fmac_f32_e32 v163, 0x3f2c7751, v102
	v_add_f32_e32 v11, v52, v11
	v_fma_f32 v52, 0xbe8c1d8e, v99, -v205
	v_add_f32_e32 v53, v213, v53
	v_fmac_f32_e32 v214, 0xbf4c4adb, v97
	v_add_f32_e32 v10, v163, v10
	v_fmac_f32_e32 v164, 0xbeb8f4ab, v104
	v_add_f32_e32 v11, v52, v11
	v_fma_f32 v52, 0x3f3d2fb0, v101, -v206
	v_add_f32_e32 v53, v214, v53
	v_fmac_f32_e32 v215, 0xbe3c28d5, v100
	v_add_f32_e32 v10, v164, v10
	v_fmac_f32_e32 v179, 0xbf7ee86f, v106
	v_add_f32_e32 v11, v52, v11
	v_fma_f32 v52, 0x3f6eb680, v103, -v207
	v_add_f32_e32 v53, v215, v53
	v_fmac_f32_e32 v216, 0x3f06c442, v102
	v_add_f32_e32 v10, v179, v10
	v_fmac_f32_e32 v184, 0xbf06c442, v108
	v_add_f32_e32 v52, v52, v11
	v_fma_f32 v59, 0x3dbcf732, v105, -v208
	v_add_f32_e32 v53, v216, v53
	v_fmac_f32_e32 v200, 0x3f763a35, v104
	v_add_f32_e32 v11, v184, v10
	v_fma_f32 v10, 0x3f3d2fb0, v93, -v218
	v_add_f32_e32 v52, v59, v52
	v_fma_f32 v59, 0xbf59a7d5, v107, -v217
	v_add_f32_e32 v53, v200, v53
	v_fmac_f32_e32 v194, 0x3f65296c, v106
	v_add_f32_e32 v61, v48, v10
	v_fmac_f32_e32 v197, 0xbeb8f4ab, v98
	v_add_f32_e32 v10, v59, v52
	v_fma_f32 v62, 0x3dbcf732, v94, -v219
	v_add_f32_e32 v52, v194, v53
	v_fma_f32 v53, 0x3f6eb680, v93, -v226
	v_add_f32_e32 v49, v49, v197
	v_fmac_f32_e32 v198, 0xbf2c7751, v95
	v_add_f32_e32 v59, v62, v61
	v_fma_f32 v61, 0xbf1a4643, v96, -v188
	v_add_f32_e32 v48, v48, v53
	v_fma_f32 v53, 0x3f3d2fb0, v94, -v110
	;; [unrolled: 6-line block ×5, first 2 shown]
	v_add_f32_e32 v49, v135, v49
	v_fmac_f32_e32 v142, 0xbf4c4adb, v104
	v_mul_f32_e32 v125, 0x3eb8f4ab, v115
	v_add_f32_e32 v55, v58, v56
	v_add_f32_e32 v48, v53, v48
	v_fma_f32 v53, 0xbf1a4643, v103, -v64
	v_fma_f32 v56, 0x3ee437d1, v105, -v132
	v_add_f32_e32 v49, v142, v49
	v_fmac_f32_e32 v57, 0xbf06c442, v106
	v_mov_b32_e32 v58, 3
	v_add_f32_e32 v48, v53, v48
	v_fma_f32 v53, 0xbf59a7d5, v105, -v66
	v_fmamk_f32 v225, v107, 0x3f6eb680, v125
	v_add_f32_e32 v1, v70, v1
	v_add_f32_e32 v0, v69, v0
	v_fmac_f32_e32 v185, 0x3eb8f4ab, v108
	v_add_f32_e32 v55, v56, v55
	v_fma_f32 v56, 0x3f6eb680, v107, -v125
	v_add_f32_e32 v57, v57, v49
	v_fmac_f32_e32 v54, 0xbe3c28d5, v108
	v_add_f32_e32 v59, v53, v48
	v_fma_f32 v60, 0xbf7ba420, v107, -v60
	v_lshlrev_b32_sdwa v58, v58, v91 dst_sel:DWORD dst_unused:UNUSED_PAD src0_sel:DWORD src1_sel:WORD_0
	v_add_f32_e32 v87, v225, v223
	v_add_f32_e32 v49, v185, v52
	;; [unrolled: 1-line block ×5, first 2 shown]
	ds_write2_b64 v58, v[0:1], v[50:51] offset1:1
	ds_write2_b64 v58, v[87:88], v[85:86] offset0:2 offset1:3
	ds_write2_b64 v58, v[83:84], v[81:82] offset0:4 offset1:5
	;; [unrolled: 1-line block ×7, first 2 shown]
	ds_write_b64 v58, v[52:53] offset:128
.LBB0_17:
	s_or_b32 exec_lo, exec_lo, s1
	s_waitcnt lgkmcnt(0)
	s_barrier
	buffer_gl0_inv
	ds_read2_b64 v[0:3], v89 offset1:187
	v_add_nc_u32_e32 v4, 0xa00, v89
	v_add_nc_u32_e32 v8, 0x1600, v89
	;; [unrolled: 1-line block ×4, first 2 shown]
	ds_read2_b64 v[4:7], v4 offset0:54 offset1:241
	ds_read2_b64 v[8:11], v8 offset0:44 offset1:231
	;; [unrolled: 1-line block ×4, first 2 shown]
	s_waitcnt lgkmcnt(0)
	s_barrier
	buffer_gl0_inv
	v_mul_f32_e32 v56, v25, v3
	v_mul_f32_e32 v25, v25, v2
	v_fmac_f32_e32 v56, v24, v2
	v_fma_f32 v3, v24, v3, -v25
	v_mul_f32_e32 v2, v27, v5
	v_mul_f32_e32 v24, v27, v4
	;; [unrolled: 1-line block ×9, first 2 shown]
	v_fmac_f32_e32 v2, v26, v4
	v_fmac_f32_e32 v27, v22, v8
	;; [unrolled: 1-line block ×4, first 2 shown]
	v_mul_f32_e32 v10, v15, v52
	v_mul_f32_e32 v15, v15, v53
	v_fma_f32 v4, v26, v5, -v24
	v_fmac_f32_e32 v25, v20, v6
	v_fma_f32 v5, v20, v7, -v21
	v_fma_f32 v6, v22, v9, -v23
	v_mul_f32_e32 v7, v19, v48
	v_mul_f32_e32 v8, v13, v51
	v_fma_f32 v9, v16, v11, -v17
	v_mul_f32_e32 v11, v13, v50
	v_add_f32_e32 v13, v27, v58
	v_fma_f32 v10, v14, v53, -v10
	v_add_f32_e32 v17, v0, v2
	v_fmac_f32_e32 v15, v14, v52
	v_fma_f32 v7, v18, v49, -v7
	v_fmac_f32_e32 v8, v12, v50
	v_fma_f32 v18, -0.5, v13, v0
	v_sub_f32_e32 v13, v4, v10
	v_fma_f32 v11, v12, v51, -v11
	v_add_f32_e32 v12, v17, v27
	v_sub_f32_e32 v19, v2, v27
	v_sub_f32_e32 v20, v15, v58
	v_add_f32_e32 v21, v2, v15
	v_fmamk_f32 v17, v13, 0xbf737871, v18
	v_sub_f32_e32 v14, v6, v7
	v_mul_f32_e32 v22, v72, v54
	v_add_f32_e32 v12, v12, v58
	v_add_f32_e32 v19, v19, v20
	v_fma_f32 v20, -0.5, v21, v0
	v_fmac_f32_e32 v18, 0x3f737871, v13
	v_add_f32_e32 v24, v1, v4
	v_fmac_f32_e32 v17, 0xbf167918, v14
	v_fma_f32 v0, v71, v55, -v22
	v_add_f32_e32 v21, v12, v15
	v_fmamk_f32 v22, v14, 0x3f737871, v20
	v_sub_f32_e32 v12, v27, v2
	v_sub_f32_e32 v23, v58, v15
	v_fmac_f32_e32 v18, 0x3f167918, v14
	v_add_f32_e32 v26, v6, v7
	v_fmac_f32_e32 v20, 0xbf737871, v14
	v_add_f32_e32 v14, v24, v6
	;; [unrolled: 2-line block ×3, first 2 shown]
	v_fma_f32 v23, -0.5, v26, v1
	v_sub_f32_e32 v2, v2, v15
	v_fmac_f32_e32 v20, 0x3f167918, v13
	v_add_f32_e32 v13, v14, v7
	v_add_f32_e32 v14, v4, v10
	v_mul_f32_e32 v16, v72, v55
	v_fmac_f32_e32 v17, 0x3e9e377a, v19
	v_fmac_f32_e32 v18, 0x3e9e377a, v19
	v_fmamk_f32 v19, v2, 0x3f737871, v23
	v_sub_f32_e32 v15, v27, v58
	v_sub_f32_e32 v24, v4, v6
	;; [unrolled: 1-line block ×3, first 2 shown]
	v_fma_f32 v27, -0.5, v14, v1
	v_fmac_f32_e32 v23, 0xbf737871, v2
	v_sub_f32_e32 v4, v6, v4
	v_sub_f32_e32 v6, v7, v10
	v_add_f32_e32 v7, v56, v25
	v_fmac_f32_e32 v16, v71, v54
	v_fmac_f32_e32 v19, 0x3f167918, v15
	v_add_f32_e32 v1, v24, v26
	v_fmamk_f32 v24, v15, 0xbf737871, v27
	v_fmac_f32_e32 v23, 0xbf167918, v15
	v_add_f32_e32 v4, v4, v6
	v_fmac_f32_e32 v27, 0x3f737871, v15
	v_add_f32_e32 v6, v7, v57
	v_add_f32_e32 v7, v57, v8
	v_fmac_f32_e32 v19, 0x3e9e377a, v1
	v_fmac_f32_e32 v24, 0x3f167918, v2
	;; [unrolled: 1-line block ×4, first 2 shown]
	v_add_f32_e32 v1, v6, v8
	v_fma_f32 v6, -0.5, v7, v56
	v_add_f32_e32 v2, v25, v16
	v_sub_f32_e32 v7, v5, v0
	v_add_f32_e32 v48, v13, v10
	v_fmac_f32_e32 v24, 0x3e9e377a, v4
	v_fmac_f32_e32 v27, 0x3e9e377a, v4
	v_add_f32_e32 v10, v1, v16
	v_sub_f32_e32 v1, v9, v11
	v_fmac_f32_e32 v56, -0.5, v2
	v_fmamk_f32 v13, v7, 0xbf737871, v6
	v_sub_f32_e32 v2, v25, v57
	v_sub_f32_e32 v4, v16, v8
	v_fmac_f32_e32 v6, 0x3f737871, v7
	v_fmac_f32_e32 v22, 0x3e9e377a, v12
	;; [unrolled: 1-line block ×4, first 2 shown]
	v_add_f32_e32 v2, v2, v4
	v_fmac_f32_e32 v6, 0x3f167918, v1
	v_fmamk_f32 v15, v1, 0x3f737871, v56
	v_sub_f32_e32 v12, v57, v25
	v_sub_f32_e32 v14, v8, v16
	v_fmac_f32_e32 v56, 0xbf737871, v1
	v_fmac_f32_e32 v13, 0x3e9e377a, v2
	v_add_f32_e32 v1, v9, v11
	v_fmac_f32_e32 v6, 0x3e9e377a, v2
	v_add_f32_e32 v2, v5, v0
	;; [unrolled: 2-line block ×3, first 2 shown]
	v_fmac_f32_e32 v56, 0x3f167918, v7
	v_fma_f32 v1, -0.5, v1, v3
	v_sub_f32_e32 v7, v25, v16
	v_add_f32_e32 v12, v3, v5
	v_sub_f32_e32 v8, v57, v8
	v_fmac_f32_e32 v3, -0.5, v2
	v_fmac_f32_e32 v15, 0x3e9e377a, v4
	v_fmac_f32_e32 v56, 0x3e9e377a, v4
	v_fmamk_f32 v4, v7, 0x3f737871, v1
	v_sub_f32_e32 v2, v5, v9
	v_sub_f32_e32 v14, v0, v11
	v_fmamk_f32 v16, v8, 0xbf737871, v3
	v_sub_f32_e32 v5, v9, v5
	v_sub_f32_e32 v25, v11, v0
	v_fmac_f32_e32 v3, 0x3f737871, v8
	v_fmac_f32_e32 v1, 0xbf737871, v7
	;; [unrolled: 1-line block ×3, first 2 shown]
	v_add_f32_e32 v2, v2, v14
	v_fmac_f32_e32 v16, 0x3f167918, v7
	v_add_f32_e32 v5, v5, v25
	v_fmac_f32_e32 v3, 0xbf167918, v7
	v_fmac_f32_e32 v1, 0xbf167918, v8
	v_add_f32_e32 v7, v12, v9
	v_fmac_f32_e32 v4, 0x3e9e377a, v2
	v_fmac_f32_e32 v16, 0x3e9e377a, v5
	;; [unrolled: 1-line block ×4, first 2 shown]
	v_add_f32_e32 v5, v7, v11
	v_mul_f32_e32 v7, 0xbf167918, v4
	v_mul_f32_e32 v9, 0xbf737871, v16
	;; [unrolled: 1-line block ×8, first 2 shown]
	v_add_f32_e32 v25, v5, v0
	v_fmac_f32_e32 v7, 0x3f4f1bbd, v13
	v_fmac_f32_e32 v9, 0x3e9e377a, v15
	;; [unrolled: 1-line block ×8, first 2 shown]
	v_add_f32_e32 v0, v21, v10
	v_add_f32_e32 v2, v17, v7
	;; [unrolled: 1-line block ×10, first 2 shown]
	v_sub_f32_e32 v6, v21, v10
	v_sub_f32_e32 v8, v17, v7
	;; [unrolled: 1-line block ×10, first 2 shown]
	ds_write2_b64 v92, v[0:1], v[2:3] offset1:17
	ds_write2_b64 v92, v[12:13], v[14:15] offset0:34 offset1:51
	ds_write2_b64 v92, v[4:5], v[6:7] offset0:68 offset1:85
	;; [unrolled: 1-line block ×4, first 2 shown]
	s_waitcnt lgkmcnt(0)
	s_barrier
	buffer_gl0_inv
	s_and_saveexec_b32 s1, s0
	s_cbranch_execz .LBB0_19
; %bb.18:
	v_add_nc_u32_e32 v4, 0x800, v89
	v_add_nc_u32_e32 v5, 0x1400, v89
	;; [unrolled: 1-line block ×4, first 2 shown]
	ds_read2_b64 v[0:3], v89 offset1:170
	ds_read2_b64 v[12:15], v4 offset0:84 offset1:254
	ds_read2_b64 v[4:7], v5 offset0:40 offset1:210
	;; [unrolled: 1-line block ×4, first 2 shown]
	ds_read_b64 v[73:74], v89 offset:13600
.LBB0_19:
	s_or_b32 exec_lo, exec_lo, s1
	s_and_saveexec_b32 s1, s0
	s_cbranch_execz .LBB0_21
; %bb.20:
	s_waitcnt lgkmcnt(5)
	v_mul_f32_e32 v21, v41, v3
	s_waitcnt lgkmcnt(0)
	v_mul_f32_e32 v20, v47, v74
	v_mul_f32_e32 v24, v43, v13
	;; [unrolled: 1-line block ×5, first 2 shown]
	v_fmac_f32_e32 v21, v40, v2
	v_fmac_f32_e32 v20, v46, v73
	v_fmac_f32_e32 v24, v42, v12
	v_fmac_f32_e32 v25, v44, v18
	v_mul_f32_e32 v18, v45, v18
	v_mul_f32_e32 v12, v43, v12
	v_fma_f32 v22, v46, v74, -v22
	v_fma_f32 v23, v40, v3, -v23
	v_sub_f32_e32 v3, v21, v20
	v_fma_f32 v18, v44, v19, -v18
	v_fma_f32 v19, v42, v13, -v12
	v_mul_f32_e32 v41, v33, v15
	v_mul_f32_e32 v42, v39, v17
	;; [unrolled: 1-line block ×3, first 2 shown]
	v_add_f32_e32 v27, v22, v23
	v_sub_f32_e32 v2, v24, v25
	v_fmac_f32_e32 v41, v32, v14
	v_fmac_f32_e32 v42, v38, v16
	v_mul_f32_e32 v16, v39, v16
	v_mul_f32_e32 v14, v33, v14
	;; [unrolled: 1-line block ×4, first 2 shown]
	v_fmamk_f32 v12, v27, 0xbe11bafb, v26
	v_mul_f32_e32 v13, 0x3e903f40, v2
	v_add_f32_e32 v40, v18, v19
	v_sub_f32_e32 v44, v41, v42
	v_fma_f32 v38, v38, v17, -v16
	v_fma_f32 v32, v32, v15, -v14
	v_fmac_f32_e32 v33, v34, v4
	v_fmac_f32_e32 v39, v36, v10
	v_mul_f32_e32 v10, v37, v10
	v_mul_f32_e32 v4, v35, v4
	v_add_f32_e32 v12, v1, v12
	v_fmamk_f32 v43, v40, 0xbf75a155, v13
	v_mul_f32_e32 v14, 0x3f68dda4, v44
	v_add_f32_e32 v16, v38, v32
	v_sub_f32_e32 v35, v33, v39
	v_fma_f32 v36, v36, v11, -v10
	v_fma_f32 v34, v34, v5, -v4
	v_add_f32_e32 v4, v43, v12
	v_fmamk_f32 v5, v16, 0x3ed4b147, v14
	v_mul_f32_e32 v12, 0xbf0a6770, v35
	v_mul_f32_e32 v43, v29, v7
	v_add_f32_e32 v37, v36, v34
	v_mul_f32_e32 v45, v31, v9
	v_add_f32_e32 v4, v5, v4
	v_sub_f32_e32 v46, v23, v22
	v_fmac_f32_e32 v43, v28, v6
	v_fmamk_f32 v5, v37, 0x3f575c64, v12
	v_fmac_f32_e32 v45, v30, v8
	v_mul_f32_e32 v6, v29, v6
	v_add_f32_e32 v29, v20, v21
	v_mul_f32_e32 v15, 0xbf7d64f0, v46
	v_add_f32_e32 v4, v5, v4
	v_mul_f32_e32 v5, v31, v8
	v_sub_f32_e32 v47, v19, v18
	v_sub_f32_e32 v31, v43, v45
	v_fma_f32 v28, v28, v7, -v6
	v_add_f32_e32 v48, v25, v24
	v_fma_f32 v30, v30, v9, -v5
	v_fma_f32 v5, 0xbe11bafb, v29, -v15
	v_mul_f32_e32 v17, 0x3e903f40, v47
	v_sub_f32_e32 v50, v32, v38
	v_mul_f32_e32 v49, 0xbf4178ce, v31
	v_add_f32_e32 v51, v30, v28
	v_add_f32_e32 v5, v0, v5
	v_fma_f32 v6, 0xbf75a155, v48, -v17
	v_add_f32_e32 v52, v42, v41
	v_mul_f32_e32 v53, 0x3f68dda4, v50
	v_sub_f32_e32 v54, v34, v36
	v_fmamk_f32 v7, v51, 0xbf27a4f4, v49
	v_add_f32_e32 v6, v6, v5
	v_mul_f32_e32 v10, 0xbf4178ce, v3
	v_fma_f32 v8, 0x3ed4b147, v52, -v53
	v_add_f32_e32 v55, v39, v33
	v_mul_f32_e32 v56, 0xbf0a6770, v54
	v_sub_f32_e32 v57, v28, v30
	v_add_f32_e32 v5, v7, v4
	v_add_f32_e32 v4, v8, v6
	v_fmamk_f32 v6, v27, 0xbf27a4f4, v10
	v_mul_f32_e32 v11, 0x3f7d64f0, v2
	v_fma_f32 v7, 0x3f575c64, v55, -v56
	v_add_f32_e32 v58, v45, v43
	v_mul_f32_e32 v59, 0xbf4178ce, v57
	v_add_f32_e32 v6, v1, v6
	v_fmamk_f32 v8, v40, 0xbe11bafb, v11
	v_mul_f32_e32 v60, 0xbf0a6770, v44
	v_add_f32_e32 v4, v7, v4
	v_fma_f32 v7, 0xbf27a4f4, v58, -v59
	v_mul_f32_e32 v61, 0xbf4178ce, v46
	v_add_f32_e32 v6, v8, v6
	v_fmamk_f32 v8, v16, 0x3f575c64, v60
	v_mul_f32_e32 v62, 0xbe903f40, v35
	v_add_f32_e32 v4, v7, v4
	v_fma_f32 v7, 0xbf27a4f4, v29, -v61
	;; [unrolled: 6-line block ×3, first 2 shown]
	v_mul_f32_e32 v65, 0xbf0a6770, v50
	v_fma_f32 v10, 0xbf27a4f4, v27, -v10
	v_add_f32_e32 v6, v8, v6
	v_fmamk_f32 v8, v51, 0x3ed4b147, v64
	v_mul_f32_e32 v66, 0xbe903f40, v3
	v_add_f32_e32 v9, v9, v7
	v_fma_f32 v67, 0x3f575c64, v52, -v65
	v_mul_f32_e32 v69, 0xbe903f40, v54
	v_add_f32_e32 v10, v1, v10
	v_fma_f32 v11, 0xbe11bafb, v40, -v11
	v_fmac_f32_e32 v61, 0xbf27a4f4, v29
	v_add_f32_e32 v7, v8, v6
	v_fmamk_f32 v6, v27, 0xbf75a155, v66
	v_mul_f32_e32 v8, 0x3f0a6770, v2
	v_add_f32_e32 v9, v67, v9
	v_fma_f32 v67, 0xbf75a155, v55, -v69
	v_mul_f32_e32 v70, 0x3f68dda4, v57
	v_add_f32_e32 v10, v11, v10
	v_fma_f32 v60, 0x3f575c64, v16, -v60
	v_add_f32_e32 v61, v0, v61
	v_fmac_f32_e32 v63, 0xbe11bafb, v48
	v_fma_f32 v26, 0xbe11bafb, v27, -v26
	v_add_f32_e32 v6, v1, v6
	v_fmamk_f32 v71, v40, 0x3f575c64, v8
	v_mul_f32_e32 v72, 0xbf4178ce, v44
	v_add_f32_e32 v9, v67, v9
	v_fma_f32 v67, 0x3ed4b147, v58, -v70
	v_mul_f32_e32 v73, 0xbe903f40, v46
	v_add_f32_e32 v10, v60, v10
	v_fma_f32 v60, 0xbf75a155, v37, -v62
	v_add_f32_e32 v61, v63, v61
	v_fmac_f32_e32 v65, 0x3f575c64, v52
	v_add_f32_e32 v26, v1, v26
	v_fma_f32 v13, 0xbf75a155, v40, -v13
	v_add_f32_e32 v71, v71, v6
	v_fmamk_f32 v74, v16, 0xbf27a4f4, v72
	v_mul_f32_e32 v75, 0x3f68dda4, v35
	v_add_f32_e32 v6, v67, v9
	v_fma_f32 v9, 0xbf75a155, v29, -v73
	v_mul_f32_e32 v67, 0x3f0a6770, v47
	v_add_f32_e32 v60, v60, v10
	v_fma_f32 v62, 0x3ed4b147, v51, -v64
	v_add_f32_e32 v61, v65, v61
	v_fmac_f32_e32 v69, 0xbf75a155, v55
	v_add_f32_e32 v26, v13, v26
	v_fma_f32 v14, 0x3ed4b147, v16, -v14
	v_fmac_f32_e32 v15, 0xbe11bafb, v29
	v_add_f32_e32 v71, v74, v71
	v_fmamk_f32 v74, v37, 0x3ed4b147, v75
	v_mul_f32_e32 v76, 0xbf7d64f0, v31
	v_add_f32_e32 v9, v0, v9
	v_fma_f32 v77, 0x3f575c64, v48, -v67
	v_mul_f32_e32 v78, 0xbf4178ce, v50
	v_fma_f32 v66, 0xbf75a155, v27, -v66
	v_add_f32_e32 v13, v62, v60
	v_add_f32_e32 v60, v69, v61
	v_fmac_f32_e32 v70, 0x3ed4b147, v58
	v_add_f32_e32 v14, v14, v26
	v_fma_f32 v26, 0x3f575c64, v37, -v12
	v_mul_f32_e32 v61, 0x3ed4b147, v27
	v_add_f32_e32 v15, v0, v15
	v_fmac_f32_e32 v17, 0xbf75a155, v48
	v_add_f32_e32 v71, v74, v71
	v_fmamk_f32 v74, v51, 0xbe11bafb, v76
	v_add_f32_e32 v77, v77, v9
	v_fma_f32 v79, 0xbf27a4f4, v52, -v78
	v_mul_f32_e32 v80, 0x3f68dda4, v54
	v_add_f32_e32 v66, v1, v66
	v_fma_f32 v8, 0x3f575c64, v40, -v8
	v_fmac_f32_e32 v73, 0xbf75a155, v29
	v_add_f32_e32 v12, v70, v60
	v_add_f32_e32 v14, v26, v14
	v_fmamk_f32 v26, v3, 0x3f68dda4, v61
	v_mul_f32_e32 v60, 0xbf27a4f4, v40
	v_add_f32_e32 v15, v17, v15
	v_fmac_f32_e32 v53, 0x3ed4b147, v52
	v_add_f32_e32 v9, v74, v71
	v_add_f32_e32 v71, v79, v77
	v_fma_f32 v74, 0x3ed4b147, v55, -v80
	v_mul_f32_e32 v77, 0xbf7d64f0, v57
	v_add_f32_e32 v8, v8, v66
	v_fma_f32 v66, 0xbf27a4f4, v16, -v72
	v_add_f32_e32 v73, v0, v73
	v_fmac_f32_e32 v67, 0x3f575c64, v48
	v_fma_f32 v17, 0xbf27a4f4, v51, -v49
	v_add_f32_e32 v26, v1, v26
	v_fmamk_f32 v49, v2, 0x3f4178ce, v60
	v_mul_f32_e32 v62, 0xbf75a155, v16
	v_add_f32_e32 v53, v53, v15
	v_fmac_f32_e32 v56, 0x3f575c64, v55
	v_add_f32_e32 v71, v74, v71
	v_fma_f32 v72, 0xbe11bafb, v58, -v77
	v_add_f32_e32 v66, v66, v8
	v_fma_f32 v74, 0x3ed4b147, v37, -v75
	v_add_f32_e32 v67, v67, v73
	v_fmac_f32_e32 v78, 0xbf27a4f4, v52
	v_add_f32_e32 v15, v17, v14
	v_add_f32_e32 v14, v49, v26
	v_fmamk_f32 v17, v44, 0xbe903f40, v62
	v_mul_f32_e32 v26, 0xbe11bafb, v37
	v_add_f32_e32 v49, v56, v53
	v_fmac_f32_e32 v59, 0xbf27a4f4, v58
	v_mul_f32_e32 v53, 0xbf68dda4, v46
	v_add_f32_e32 v8, v72, v71
	v_add_f32_e32 v66, v74, v66
	v_fma_f32 v71, 0xbe11bafb, v51, -v76
	v_add_f32_e32 v67, v78, v67
	v_fmac_f32_e32 v80, 0x3ed4b147, v55
	v_add_f32_e32 v17, v17, v14
	v_fmamk_f32 v56, v35, 0xbf7d64f0, v26
	v_mul_f32_e32 v63, 0x3f575c64, v51
	v_add_f32_e32 v14, v59, v49
	v_fmamk_f32 v49, v29, 0x3ed4b147, v53
	v_mul_f32_e32 v59, 0xbf4178ce, v47
	v_add_f32_e32 v11, v71, v66
	v_add_f32_e32 v66, v80, v67
	v_fmac_f32_e32 v77, 0xbe11bafb, v58
	v_add_f32_e32 v17, v56, v17
	v_fmamk_f32 v56, v31, 0xbf0a6770, v63
	v_mul_f32_e32 v27, 0x3f575c64, v27
	v_add_f32_e32 v49, v0, v49
	v_fmamk_f32 v64, v48, 0xbf27a4f4, v59
	v_mul_f32_e32 v65, 0x3e903f40, v50
	v_add_f32_e32 v10, v77, v66
	v_add_f32_e32 v17, v56, v17
	v_fmamk_f32 v56, v3, 0x3f0a6770, v27
	v_mul_f32_e32 v40, 0x3ed4b147, v40
	v_add_f32_e32 v49, v64, v49
	v_fmamk_f32 v64, v52, 0xbf75a155, v65
	v_mul_f32_e32 v66, 0x3f7d64f0, v54
	v_add_f32_e32 v23, v23, v1
	;; [unrolled: 7-line block ×4, first 2 shown]
	v_add_f32_e32 v19, v32, v19
	v_add_f32_e32 v56, v67, v56
	v_fmamk_f32 v67, v35, 0x3f4178ce, v37
	v_add_f32_e32 v16, v49, v16
	v_fmamk_f32 v49, v29, 0x3f575c64, v46
	v_add_f32_e32 v21, v24, v21
	v_mul_f32_e32 v32, 0xbf75a155, v51
	v_add_f32_e32 v19, v34, v19
	v_add_f32_e32 v23, v67, v56
	v_mul_f32_e32 v24, 0xbf68dda4, v47
	v_add_f32_e32 v47, v0, v49
	v_add_f32_e32 v21, v41, v21
	v_fmamk_f32 v49, v31, 0x3e903f40, v32
	v_add_f32_e32 v28, v28, v19
	v_fmamk_f32 v34, v48, 0x3ed4b147, v24
	v_mul_f32_e32 v41, 0xbf7d64f0, v50
	v_add_f32_e32 v21, v33, v21
	v_add_f32_e32 v19, v49, v23
	;; [unrolled: 1-line block ×4, first 2 shown]
	v_fmamk_f32 v34, v52, 0xbe11bafb, v41
	v_add_f32_e32 v21, v43, v21
	v_fmac_f32_e32 v61, 0xbf68dda4, v3
	v_add_f32_e32 v23, v36, v23
	v_fmac_f32_e32 v60, 0xbf4178ce, v2
	v_add_f32_e32 v28, v34, v33
	v_add_f32_e32 v21, v45, v21
	;; [unrolled: 1-line block ×4, first 2 shown]
	v_fmac_f32_e32 v62, 0x3e903f40, v44
	v_fmac_f32_e32 v26, 0x3f7d64f0, v35
	v_add_f32_e32 v21, v39, v21
	v_add_f32_e32 v33, v60, v33
	;; [unrolled: 1-line block ×3, first 2 shown]
	v_fmac_f32_e32 v27, 0xbf0a6770, v3
	v_fma_f32 v3, 0x3f575c64, v29, -v46
	v_add_f32_e32 v38, v42, v21
	v_add_f32_e32 v33, v62, v33
	v_add_f32_e32 v21, v22, v23
	v_fma_f32 v23, 0x3ed4b147, v29, -v53
	v_add_f32_e32 v1, v1, v27
	v_add_f32_e32 v22, v25, v38
	;; [unrolled: 1-line block ×3, first 2 shown]
	v_fma_f32 v26, 0xbf27a4f4, v48, -v59
	v_add_f32_e32 v23, v0, v23
	v_fmac_f32_e32 v40, 0xbf68dda4, v2
	v_mul_f32_e32 v30, 0xbf4178ce, v54
	v_add_f32_e32 v0, v0, v3
	v_fma_f32 v2, 0x3ed4b147, v48, -v24
	v_add_f32_e32 v3, v26, v23
	v_fma_f32 v23, 0xbf75a155, v52, -v65
	v_add_f32_e32 v1, v40, v1
	v_fmac_f32_e32 v69, 0xbf7d64f0, v44
	v_fmamk_f32 v34, v55, 0xbf27a4f4, v30
	v_mul_f32_e32 v36, 0xbe903f40, v57
	v_add_f32_e32 v0, v2, v0
	v_fma_f32 v2, 0xbe11bafb, v52, -v41
	v_add_f32_e32 v3, v23, v3
	v_fma_f32 v23, 0xbe11bafb, v55, -v66
	v_add_f32_e32 v1, v69, v1
	v_fmac_f32_e32 v37, 0xbf4178ce, v35
	v_add_f32_e32 v28, v34, v28
	v_fmamk_f32 v34, v58, 0xbf75a155, v36
	v_add_f32_e32 v0, v2, v0
	v_fma_f32 v2, 0xbf27a4f4, v55, -v30
	v_add_f32_e32 v3, v23, v3
	v_fma_f32 v23, 0x3f575c64, v58, -v64
	v_add_f32_e32 v24, v37, v1
	v_fmac_f32_e32 v32, 0xbe903f40, v31
	v_fmac_f32_e32 v63, 0x3f0a6770, v31
	v_add_f32_e32 v18, v34, v28
	v_add_f32_e32 v2, v2, v0
	v_fma_f32 v26, 0xbf75a155, v58, -v36
	v_add_f32_e32 v20, v20, v22
	v_add_nc_u32_e32 v22, 0x800, v89
	v_add_f32_e32 v0, v23, v3
	v_add_nc_u32_e32 v23, 0x1400, v89
	;; [unrolled: 2-line block ×4, first 2 shown]
	v_add_f32_e32 v2, v26, v2
	ds_write2_b64 v89, v[20:21], v[18:19] offset1:170
	ds_write2_b64 v22, v[16:17], v[14:15] offset0:84 offset1:254
	ds_write2_b64 v23, v[12:13], v[10:11] offset0:40 offset1:210
	;; [unrolled: 1-line block ×4, first 2 shown]
	ds_write_b64 v89, v[2:3] offset:13600
.LBB0_21:
	s_or_b32 exec_lo, exec_lo, s1
	s_waitcnt lgkmcnt(0)
	s_barrier
	buffer_gl0_inv
	s_and_b32 exec_lo, exec_lo, vcc_lo
	s_cbranch_execz .LBB0_23
; %bb.22:
	global_load_dwordx2 v[0:1], v89, s[12:13]
	ds_read_b64 v[2:3], v89
	s_mov_b32 s0, 0xfa401186
	s_mov_b32 s1, 0x3f4185e2
	v_mad_u64_u32 v[6:7], null, s4, v90, 0
	s_mul_i32 s2, s5, 0x370
	s_mul_i32 s3, s4, 0x370
	s_waitcnt vmcnt(0) lgkmcnt(0)
	v_mul_f32_e32 v4, v3, v1
	v_mul_f32_e32 v1, v2, v1
	v_fmac_f32_e32 v4, v2, v0
	v_fma_f32 v2, v0, v3, -v1
	v_cvt_f64_f32_e32 v[0:1], v4
	v_cvt_f64_f32_e32 v[2:3], v2
	v_mad_u64_u32 v[4:5], null, s6, v68, 0
	v_mad_u64_u32 v[8:9], null, s7, v68, v[5:6]
	;; [unrolled: 1-line block ×3, first 2 shown]
	v_mov_b32_e32 v5, v8
	s_mul_hi_u32 s5, s4, 0x370
	v_mul_f64 v[0:1], v[0:1], s[0:1]
	v_mul_f64 v[2:3], v[2:3], s[0:1]
	s_add_i32 s2, s5, s2
	v_add_co_u32 v10, s4, s12, v89
	v_mov_b32_e32 v7, v9
	v_add_co_ci_u32_e64 v11, null, s13, 0, s4
	v_cvt_f32_f64_e32 v0, v[0:1]
	v_cvt_f32_f64_e32 v1, v[2:3]
	v_lshlrev_b64 v[2:3], 3, v[4:5]
	v_lshlrev_b64 v[4:5], 3, v[6:7]
	v_add_co_u32 v2, vcc_lo, s14, v2
	v_add_co_ci_u32_e32 v3, vcc_lo, s15, v3, vcc_lo
	v_add_co_u32 v4, vcc_lo, v2, v4
	v_add_co_ci_u32_e32 v5, vcc_lo, v3, v5, vcc_lo
	global_store_dwordx2 v[4:5], v[0:1], off
	global_load_dwordx2 v[6:7], v89, s[12:13] offset:880
	ds_read2_b64 v[0:3], v89 offset0:110 offset1:220
	v_add_co_u32 v4, vcc_lo, v4, s3
	v_add_co_ci_u32_e32 v5, vcc_lo, s2, v5, vcc_lo
	s_waitcnt vmcnt(0) lgkmcnt(0)
	v_mul_f32_e32 v8, v1, v7
	v_mul_f32_e32 v7, v0, v7
	v_fmac_f32_e32 v8, v0, v6
	v_fma_f32 v6, v6, v1, -v7
	v_cvt_f64_f32_e32 v[0:1], v8
	v_cvt_f64_f32_e32 v[6:7], v6
	v_mul_f64 v[0:1], v[0:1], s[0:1]
	v_mul_f64 v[6:7], v[6:7], s[0:1]
	v_cvt_f32_f64_e32 v0, v[0:1]
	v_cvt_f32_f64_e32 v1, v[6:7]
	global_store_dwordx2 v[4:5], v[0:1], off
	global_load_dwordx2 v[0:1], v89, s[12:13] offset:1760
	v_add_co_u32 v4, vcc_lo, v4, s3
	v_add_co_ci_u32_e32 v5, vcc_lo, s2, v5, vcc_lo
	s_waitcnt vmcnt(0)
	v_mul_f32_e32 v6, v3, v1
	v_mul_f32_e32 v1, v2, v1
	v_fmac_f32_e32 v6, v2, v0
	v_fma_f32 v2, v0, v3, -v1
	v_cvt_f64_f32_e32 v[0:1], v6
	v_cvt_f64_f32_e32 v[2:3], v2
	v_add_co_u32 v6, vcc_lo, 0x800, v10
	v_add_co_ci_u32_e32 v7, vcc_lo, 0, v11, vcc_lo
	v_mul_f64 v[0:1], v[0:1], s[0:1]
	v_mul_f64 v[2:3], v[2:3], s[0:1]
	v_cvt_f32_f64_e32 v0, v[0:1]
	v_cvt_f32_f64_e32 v1, v[2:3]
	global_store_dwordx2 v[4:5], v[0:1], off
	global_load_dwordx2 v[8:9], v[6:7], off offset:592
	v_add_nc_u32_e32 v0, 0x800, v89
	v_add_co_u32 v4, vcc_lo, v4, s3
	v_add_co_ci_u32_e32 v5, vcc_lo, s2, v5, vcc_lo
	ds_read2_b64 v[0:3], v0 offset0:74 offset1:184
	s_waitcnt vmcnt(0) lgkmcnt(0)
	v_mul_f32_e32 v12, v1, v9
	v_mul_f32_e32 v9, v0, v9
	v_fmac_f32_e32 v12, v0, v8
	v_fma_f32 v8, v8, v1, -v9
	v_cvt_f64_f32_e32 v[0:1], v12
	v_cvt_f64_f32_e32 v[8:9], v8
	v_mul_f64 v[0:1], v[0:1], s[0:1]
	v_mul_f64 v[8:9], v[8:9], s[0:1]
	v_cvt_f32_f64_e32 v0, v[0:1]
	v_cvt_f32_f64_e32 v1, v[8:9]
	global_store_dwordx2 v[4:5], v[0:1], off
	global_load_dwordx2 v[0:1], v[6:7], off offset:1472
	v_add_co_u32 v4, vcc_lo, v4, s3
	v_add_co_ci_u32_e32 v5, vcc_lo, s2, v5, vcc_lo
	s_waitcnt vmcnt(0)
	v_mul_f32_e32 v6, v3, v1
	v_mul_f32_e32 v1, v2, v1
	v_fmac_f32_e32 v6, v2, v0
	v_fma_f32 v2, v0, v3, -v1
	v_cvt_f64_f32_e32 v[0:1], v6
	v_cvt_f64_f32_e32 v[2:3], v2
	v_add_co_u32 v6, vcc_lo, 0x1000, v10
	v_add_co_ci_u32_e32 v7, vcc_lo, 0, v11, vcc_lo
	v_mul_f64 v[0:1], v[0:1], s[0:1]
	v_mul_f64 v[2:3], v[2:3], s[0:1]
	v_cvt_f32_f64_e32 v0, v[0:1]
	v_cvt_f32_f64_e32 v1, v[2:3]
	global_store_dwordx2 v[4:5], v[0:1], off
	global_load_dwordx2 v[8:9], v[6:7], off offset:304
	v_add_nc_u32_e32 v0, 0x1000, v89
	v_add_co_u32 v4, vcc_lo, v4, s3
	v_add_co_ci_u32_e32 v5, vcc_lo, s2, v5, vcc_lo
	ds_read2_b64 v[0:3], v0 offset0:38 offset1:148
	s_waitcnt vmcnt(0) lgkmcnt(0)
	v_mul_f32_e32 v12, v1, v9
	v_mul_f32_e32 v9, v0, v9
	v_fmac_f32_e32 v12, v0, v8
	v_fma_f32 v8, v8, v1, -v9
	v_cvt_f64_f32_e32 v[0:1], v12
	v_cvt_f64_f32_e32 v[8:9], v8
	v_mul_f64 v[0:1], v[0:1], s[0:1]
	v_mul_f64 v[8:9], v[8:9], s[0:1]
	v_cvt_f32_f64_e32 v0, v[0:1]
	v_cvt_f32_f64_e32 v1, v[8:9]
	global_store_dwordx2 v[4:5], v[0:1], off
	global_load_dwordx2 v[0:1], v[6:7], off offset:1184
	;; [unrolled: 34-line block ×3, first 2 shown]
	v_add_co_u32 v4, vcc_lo, v4, s3
	v_add_co_ci_u32_e32 v5, vcc_lo, s2, v5, vcc_lo
	s_waitcnt vmcnt(0)
	v_mul_f32_e32 v8, v3, v1
	v_mul_f32_e32 v1, v2, v1
	v_fmac_f32_e32 v8, v2, v0
	v_fma_f32 v2, v0, v3, -v1
	v_cvt_f64_f32_e32 v[0:1], v8
	v_cvt_f64_f32_e32 v[2:3], v2
	v_mul_f64 v[0:1], v[0:1], s[0:1]
	v_mul_f64 v[2:3], v[2:3], s[0:1]
	v_cvt_f32_f64_e32 v0, v[0:1]
	v_cvt_f32_f64_e32 v1, v[2:3]
	global_store_dwordx2 v[4:5], v[0:1], off
	global_load_dwordx2 v[6:7], v[6:7], off offset:1776
	v_add_nc_u32_e32 v0, 0x1c00, v89
	v_add_co_u32 v4, vcc_lo, v4, s3
	v_add_co_ci_u32_e32 v5, vcc_lo, s2, v5, vcc_lo
	ds_read2_b64 v[0:3], v0 offset0:94 offset1:204
	s_waitcnt vmcnt(0) lgkmcnt(0)
	v_mul_f32_e32 v8, v1, v7
	v_mul_f32_e32 v7, v0, v7
	v_fmac_f32_e32 v8, v0, v6
	v_fma_f32 v6, v6, v1, -v7
	v_cvt_f64_f32_e32 v[0:1], v8
	v_cvt_f64_f32_e32 v[6:7], v6
	v_mul_f64 v[0:1], v[0:1], s[0:1]
	v_mul_f64 v[6:7], v[6:7], s[0:1]
	v_cvt_f32_f64_e32 v0, v[0:1]
	v_cvt_f32_f64_e32 v1, v[6:7]
	v_add_co_u32 v6, vcc_lo, 0x2000, v10
	v_add_co_ci_u32_e32 v7, vcc_lo, 0, v11, vcc_lo
	global_store_dwordx2 v[4:5], v[0:1], off
	global_load_dwordx2 v[0:1], v[6:7], off offset:608
	v_add_co_u32 v4, vcc_lo, v4, s3
	v_add_co_ci_u32_e32 v5, vcc_lo, s2, v5, vcc_lo
	s_waitcnt vmcnt(0)
	v_mul_f32_e32 v8, v3, v1
	v_mul_f32_e32 v1, v2, v1
	v_fmac_f32_e32 v8, v2, v0
	v_fma_f32 v2, v0, v3, -v1
	v_cvt_f64_f32_e32 v[0:1], v8
	v_cvt_f64_f32_e32 v[2:3], v2
	v_mul_f64 v[0:1], v[0:1], s[0:1]
	v_mul_f64 v[2:3], v[2:3], s[0:1]
	v_cvt_f32_f64_e32 v0, v[0:1]
	v_cvt_f32_f64_e32 v1, v[2:3]
	global_store_dwordx2 v[4:5], v[0:1], off
	global_load_dwordx2 v[6:7], v[6:7], off offset:1488
	v_add_nc_u32_e32 v0, 0x2400, v89
	v_add_co_u32 v4, vcc_lo, v4, s3
	v_add_co_ci_u32_e32 v5, vcc_lo, s2, v5, vcc_lo
	ds_read2_b64 v[0:3], v0 offset0:58 offset1:168
	s_waitcnt vmcnt(0) lgkmcnt(0)
	v_mul_f32_e32 v8, v1, v7
	v_mul_f32_e32 v7, v0, v7
	v_fmac_f32_e32 v8, v0, v6
	v_fma_f32 v6, v6, v1, -v7
	v_cvt_f64_f32_e32 v[0:1], v8
	v_cvt_f64_f32_e32 v[6:7], v6
	v_mul_f64 v[0:1], v[0:1], s[0:1]
	v_mul_f64 v[6:7], v[6:7], s[0:1]
	v_cvt_f32_f64_e32 v0, v[0:1]
	v_cvt_f32_f64_e32 v1, v[6:7]
	v_add_co_u32 v6, vcc_lo, 0x2800, v10
	v_add_co_ci_u32_e32 v7, vcc_lo, 0, v11, vcc_lo
	global_store_dwordx2 v[4:5], v[0:1], off
	global_load_dwordx2 v[0:1], v[6:7], off offset:320
	;; [unrolled: 34-line block ×3, first 2 shown]
	v_add_co_u32 v4, vcc_lo, v4, s3
	v_add_co_ci_u32_e32 v5, vcc_lo, s2, v5, vcc_lo
	s_waitcnt vmcnt(0)
	v_mul_f32_e32 v8, v3, v1
	v_mul_f32_e32 v1, v2, v1
	v_fmac_f32_e32 v8, v2, v0
	v_fma_f32 v2, v0, v3, -v1
	v_cvt_f64_f32_e32 v[0:1], v8
	v_cvt_f64_f32_e32 v[2:3], v2
	v_mul_f64 v[0:1], v[0:1], s[0:1]
	v_mul_f64 v[2:3], v[2:3], s[0:1]
	v_cvt_f32_f64_e32 v0, v[0:1]
	v_cvt_f32_f64_e32 v1, v[2:3]
	global_store_dwordx2 v[4:5], v[0:1], off
	global_load_dwordx2 v[8:9], v[6:7], off offset:912
	v_add_nc_u32_e32 v0, 0x3000, v89
	v_add_co_u32 v4, vcc_lo, v4, s3
	v_add_co_ci_u32_e32 v5, vcc_lo, s2, v5, vcc_lo
	ds_read2_b64 v[0:3], v0 offset0:114 offset1:224
	s_waitcnt vmcnt(0) lgkmcnt(0)
	v_mul_f32_e32 v10, v1, v9
	v_mul_f32_e32 v9, v0, v9
	v_fmac_f32_e32 v10, v0, v8
	v_fma_f32 v8, v8, v1, -v9
	v_cvt_f64_f32_e32 v[0:1], v10
	v_cvt_f64_f32_e32 v[8:9], v8
	v_mul_f64 v[0:1], v[0:1], s[0:1]
	v_mul_f64 v[8:9], v[8:9], s[0:1]
	v_cvt_f32_f64_e32 v0, v[0:1]
	v_cvt_f32_f64_e32 v1, v[8:9]
	global_store_dwordx2 v[4:5], v[0:1], off
	global_load_dwordx2 v[0:1], v[6:7], off offset:1792
	s_waitcnt vmcnt(0)
	v_mul_f32_e32 v6, v3, v1
	v_mul_f32_e32 v1, v2, v1
	v_fmac_f32_e32 v6, v2, v0
	v_fma_f32 v2, v0, v3, -v1
	v_cvt_f64_f32_e32 v[0:1], v6
	v_cvt_f64_f32_e32 v[2:3], v2
	v_mul_f64 v[0:1], v[0:1], s[0:1]
	v_mul_f64 v[2:3], v[2:3], s[0:1]
	v_cvt_f32_f64_e32 v0, v[0:1]
	v_cvt_f32_f64_e32 v1, v[2:3]
	v_add_co_u32 v2, vcc_lo, v4, s3
	v_add_co_ci_u32_e32 v3, vcc_lo, s2, v5, vcc_lo
	global_store_dwordx2 v[2:3], v[0:1], off
.LBB0_23:
	s_endpgm
	.section	.rodata,"a",@progbits
	.p2align	6, 0x0
	.amdhsa_kernel bluestein_single_fwd_len1870_dim1_sp_op_CI_CI
		.amdhsa_group_segment_fixed_size 14960
		.amdhsa_private_segment_fixed_size 0
		.amdhsa_kernarg_size 104
		.amdhsa_user_sgpr_count 6
		.amdhsa_user_sgpr_private_segment_buffer 1
		.amdhsa_user_sgpr_dispatch_ptr 0
		.amdhsa_user_sgpr_queue_ptr 0
		.amdhsa_user_sgpr_kernarg_segment_ptr 1
		.amdhsa_user_sgpr_dispatch_id 0
		.amdhsa_user_sgpr_flat_scratch_init 0
		.amdhsa_user_sgpr_private_segment_size 0
		.amdhsa_wavefront_size32 1
		.amdhsa_uses_dynamic_stack 0
		.amdhsa_system_sgpr_private_segment_wavefront_offset 0
		.amdhsa_system_sgpr_workgroup_id_x 1
		.amdhsa_system_sgpr_workgroup_id_y 0
		.amdhsa_system_sgpr_workgroup_id_z 0
		.amdhsa_system_sgpr_workgroup_info 0
		.amdhsa_system_vgpr_workitem_id 0
		.amdhsa_next_free_vgpr 255
		.amdhsa_next_free_sgpr 16
		.amdhsa_reserve_vcc 1
		.amdhsa_reserve_flat_scratch 0
		.amdhsa_float_round_mode_32 0
		.amdhsa_float_round_mode_16_64 0
		.amdhsa_float_denorm_mode_32 3
		.amdhsa_float_denorm_mode_16_64 3
		.amdhsa_dx10_clamp 1
		.amdhsa_ieee_mode 1
		.amdhsa_fp16_overflow 0
		.amdhsa_workgroup_processor_mode 1
		.amdhsa_memory_ordered 1
		.amdhsa_forward_progress 0
		.amdhsa_shared_vgpr_count 0
		.amdhsa_exception_fp_ieee_invalid_op 0
		.amdhsa_exception_fp_denorm_src 0
		.amdhsa_exception_fp_ieee_div_zero 0
		.amdhsa_exception_fp_ieee_overflow 0
		.amdhsa_exception_fp_ieee_underflow 0
		.amdhsa_exception_fp_ieee_inexact 0
		.amdhsa_exception_int_div_zero 0
	.end_amdhsa_kernel
	.text
.Lfunc_end0:
	.size	bluestein_single_fwd_len1870_dim1_sp_op_CI_CI, .Lfunc_end0-bluestein_single_fwd_len1870_dim1_sp_op_CI_CI
                                        ; -- End function
	.section	.AMDGPU.csdata,"",@progbits
; Kernel info:
; codeLenInByte = 21956
; NumSgprs: 18
; NumVgprs: 255
; ScratchSize: 0
; MemoryBound: 0
; FloatMode: 240
; IeeeMode: 1
; LDSByteSize: 14960 bytes/workgroup (compile time only)
; SGPRBlocks: 2
; VGPRBlocks: 31
; NumSGPRsForWavesPerEU: 18
; NumVGPRsForWavesPerEU: 255
; Occupancy: 4
; WaveLimiterHint : 1
; COMPUTE_PGM_RSRC2:SCRATCH_EN: 0
; COMPUTE_PGM_RSRC2:USER_SGPR: 6
; COMPUTE_PGM_RSRC2:TRAP_HANDLER: 0
; COMPUTE_PGM_RSRC2:TGID_X_EN: 1
; COMPUTE_PGM_RSRC2:TGID_Y_EN: 0
; COMPUTE_PGM_RSRC2:TGID_Z_EN: 0
; COMPUTE_PGM_RSRC2:TIDIG_COMP_CNT: 0
	.text
	.p2alignl 6, 3214868480
	.fill 48, 4, 3214868480
	.type	__hip_cuid_f3e4a87ec4fbd506,@object ; @__hip_cuid_f3e4a87ec4fbd506
	.section	.bss,"aw",@nobits
	.globl	__hip_cuid_f3e4a87ec4fbd506
__hip_cuid_f3e4a87ec4fbd506:
	.byte	0                               ; 0x0
	.size	__hip_cuid_f3e4a87ec4fbd506, 1

	.ident	"AMD clang version 19.0.0git (https://github.com/RadeonOpenCompute/llvm-project roc-6.4.0 25133 c7fe45cf4b819c5991fe208aaa96edf142730f1d)"
	.section	".note.GNU-stack","",@progbits
	.addrsig
	.addrsig_sym __hip_cuid_f3e4a87ec4fbd506
	.amdgpu_metadata
---
amdhsa.kernels:
  - .args:
      - .actual_access:  read_only
        .address_space:  global
        .offset:         0
        .size:           8
        .value_kind:     global_buffer
      - .actual_access:  read_only
        .address_space:  global
        .offset:         8
        .size:           8
        .value_kind:     global_buffer
      - .actual_access:  read_only
        .address_space:  global
        .offset:         16
        .size:           8
        .value_kind:     global_buffer
      - .actual_access:  read_only
        .address_space:  global
        .offset:         24
        .size:           8
        .value_kind:     global_buffer
      - .actual_access:  read_only
        .address_space:  global
        .offset:         32
        .size:           8
        .value_kind:     global_buffer
      - .offset:         40
        .size:           8
        .value_kind:     by_value
      - .address_space:  global
        .offset:         48
        .size:           8
        .value_kind:     global_buffer
      - .address_space:  global
        .offset:         56
        .size:           8
        .value_kind:     global_buffer
      - .address_space:  global
        .offset:         64
        .size:           8
        .value_kind:     global_buffer
      - .address_space:  global
        .offset:         72
        .size:           8
        .value_kind:     global_buffer
      - .offset:         80
        .size:           4
        .value_kind:     by_value
      - .address_space:  global
        .offset:         88
        .size:           8
        .value_kind:     global_buffer
      - .address_space:  global
        .offset:         96
        .size:           8
        .value_kind:     global_buffer
    .group_segment_fixed_size: 14960
    .kernarg_segment_align: 8
    .kernarg_segment_size: 104
    .language:       OpenCL C
    .language_version:
      - 2
      - 0
    .max_flat_workgroup_size: 187
    .name:           bluestein_single_fwd_len1870_dim1_sp_op_CI_CI
    .private_segment_fixed_size: 0
    .sgpr_count:     18
    .sgpr_spill_count: 0
    .symbol:         bluestein_single_fwd_len1870_dim1_sp_op_CI_CI.kd
    .uniform_work_group_size: 1
    .uses_dynamic_stack: false
    .vgpr_count:     255
    .vgpr_spill_count: 0
    .wavefront_size: 32
    .workgroup_processor_mode: 1
amdhsa.target:   amdgcn-amd-amdhsa--gfx1030
amdhsa.version:
  - 1
  - 2
...

	.end_amdgpu_metadata
